;; amdgpu-corpus repo=ROCm/rocFFT kind=compiled arch=gfx950 opt=O3
	.text
	.amdgcn_target "amdgcn-amd-amdhsa--gfx950"
	.amdhsa_code_object_version 6
	.protected	bluestein_single_back_len135_dim1_sp_op_CI_CI ; -- Begin function bluestein_single_back_len135_dim1_sp_op_CI_CI
	.globl	bluestein_single_back_len135_dim1_sp_op_CI_CI
	.p2align	8
	.type	bluestein_single_back_len135_dim1_sp_op_CI_CI,@function
bluestein_single_back_len135_dim1_sp_op_CI_CI: ; @bluestein_single_back_len135_dim1_sp_op_CI_CI
; %bb.0:
	s_load_dwordx4 s[12:15], s[0:1], 0x28
	v_mul_u32_u24_e32 v1, 0x1c72, v0
	v_lshrrev_b32_e32 v2, 16, v1
	v_mad_u64_u32 v[20:21], s[2:3], s2, 14, v[2:3]
	v_mov_b32_e32 v21, 0
	s_waitcnt lgkmcnt(0)
	v_cmp_gt_u64_e32 vcc, s[12:13], v[20:21]
	s_and_saveexec_b64 s[2:3], vcc
	s_cbranch_execz .LBB0_2
; %bb.1:
	s_load_dwordx4 s[4:7], s[0:1], 0x18
	s_load_dwordx4 s[8:11], s[0:1], 0x0
	v_mov_b32_e32 v4, s14
	v_mov_b32_e32 v5, s15
	v_mul_lo_u16_e32 v1, 9, v2
	s_waitcnt lgkmcnt(0)
	s_load_dwordx4 s[12:15], s[4:5], 0x0
	v_sub_u16_e32 v84, v0, v1
	v_mov_b32_e32 v97, 0xd8
	v_lshlrev_b32_e32 v103, 3, v84
	global_load_dwordx2 v[90:91], v103, s[8:9]
	global_load_dwordx2 v[88:89], v103, s[8:9] offset:216
	global_load_dwordx2 v[86:87], v103, s[8:9] offset:432
	s_waitcnt lgkmcnt(0)
	v_mad_u64_u32 v[0:1], s[2:3], s14, v20, 0
	v_mov_b32_e32 v2, v1
	v_mad_u64_u32 v[2:3], s[2:3], s15, v20, v[2:3]
	v_mov_b32_e32 v1, v2
	;; [unrolled: 2-line block ×4, first 2 shown]
	v_lshl_add_u64 v[0:1], v[0:1], 3, v[4:5]
	v_lshl_add_u64 v[0:1], v[2:3], 3, v[0:1]
	global_load_dwordx2 v[2:3], v[0:1], off
	v_mad_u64_u32 v[0:1], s[2:3], s12, v97, v[0:1]
	s_mul_i32 s4, s13, 0xd8
	v_add_u32_e32 v1, s4, v1
	v_mad_u64_u32 v[4:5], s[2:3], s12, v97, v[0:1]
	v_add_u32_e32 v5, s4, v5
	v_mad_u64_u32 v[6:7], s[2:3], s12, v97, v[4:5]
	v_add_u32_e32 v7, s4, v7
	global_load_dwordx2 v[82:83], v103, s[8:9] offset:648
	global_load_dwordx2 v[8:9], v[0:1], off
	v_mad_u64_u32 v[0:1], s[2:3], s12, v97, v[6:7]
	v_add_u32_e32 v1, s4, v1
	v_mov_b32_e32 v99, 0xfffffce8
	global_load_dwordx2 v[10:11], v[4:5], off
	global_load_dwordx2 v[12:13], v[6:7], off
	;; [unrolled: 1-line block ×3, first 2 shown]
	global_load_dwordx2 v[78:79], v103, s[8:9] offset:864
	v_mad_u64_u32 v[0:1], s[2:3], s12, v99, v[0:1]
	s_add_u32 s16, s8, 0x438
	s_mul_i32 s2, s13, 0xfffffce8
	s_addc_u32 s17, s9, 0
	s_sub_i32 s5, s2, s12
	v_add_u32_e32 v1, s5, v1
	global_load_dwordx2 v[4:5], v[0:1], off
	global_load_dwordx2 v[80:81], v103, s[8:9] offset:72
	v_mad_u64_u32 v[0:1], s[2:3], s12, v97, v[0:1]
	v_add_u32_e32 v1, s4, v1
	global_load_dwordx2 v[6:7], v[0:1], off
	global_load_dwordx2 v[76:77], v103, s[8:9] offset:288
	v_mad_u64_u32 v[0:1], s[2:3], s12, v97, v[0:1]
	;; [unrolled: 4-line block ×7, first 2 shown]
	v_add_u32_e32 v1, s4, v1
	global_load_dwordx2 v[28:29], v[0:1], off
	global_load_dwordx2 v[62:63], v103, s[8:9] offset:792
	global_load_dwordx2 v[72:73], v103, s[8:9] offset:576
	v_mad_u64_u32 v[0:1], s[2:3], s12, v97, v[0:1]
	v_add_u32_e32 v1, s4, v1
	global_load_dwordx2 v[30:31], v[0:1], off
	v_mad_u64_u32 v[0:1], s[2:3], s12, v97, v[0:1]
	v_add_u32_e32 v1, s4, v1
	global_load_dwordx2 v[32:33], v[0:1], off
	global_load_dwordx2 v[60:61], v103, s[8:9] offset:1008
	v_lshrrev_b32_e32 v0, 1, v20
	s_mov_b32 s2, 0x92492493
	v_mul_hi_u32 v0, v0, s2
	v_lshrrev_b32_e32 v0, 2, v0
	v_mul_lo_u32 v0, v0, 14
	v_sub_u32_e32 v0, v20, v0
	v_mul_u32_u24_e32 v1, 0x87, v0
	v_lshlrev_b32_e32 v40, 3, v1
	v_add_u32_e32 v101, v103, v40
	s_load_dwordx4 s[4:7], s[6:7], 0x0
	s_mov_b32 s12, 0x3f737871
	s_mov_b32 s18, 0x3f167918
	s_mov_b32 s14, 0x3e9e377a
	s_mov_b32 s2, 0
	v_mov_b32_e32 v85, s2
	s_movk_i32 s2, 0xcd
	v_lshl_add_u64 v[56:57], v[84:85], 0, 36
	v_cmp_gt_u16_e32 vcc, 5, v84
	s_load_dwordx2 s[0:1], s[0:1], 0x38
	s_waitcnt vmcnt(26)
	v_mul_f32_e32 v0, v3, v91
	v_mul_f32_e32 v1, v2, v91
	v_fmac_f32_e32 v0, v2, v90
	v_fma_f32 v1, v3, v90, -v1
	s_waitcnt vmcnt(24)
	v_mul_f32_e32 v2, v9, v89
	v_mul_f32_e32 v3, v8, v89
	v_fmac_f32_e32 v2, v8, v88
	v_fma_f32 v3, v9, v88, -v3
	ds_write_b64 v101, v[2:3] offset:216
	s_waitcnt vmcnt(23)
	v_mul_f32_e32 v2, v11, v87
	v_mul_f32_e32 v3, v10, v87
	v_fmac_f32_e32 v2, v10, v86
	v_fma_f32 v3, v11, v86, -v3
	ds_write_b64 v101, v[2:3] offset:432
	;; [unrolled: 6-line block ×4, first 2 shown]
	s_waitcnt vmcnt(18)
	v_mul_f32_e32 v2, v5, v81
	v_mul_f32_e32 v3, v4, v81
	v_fmac_f32_e32 v2, v4, v80
	v_fma_f32 v3, v5, v80, -v3
	ds_write2_b64 v101, v[0:1], v[2:3] offset1:9
	s_waitcnt vmcnt(16)
	v_mul_f32_e32 v0, v7, v77
	v_mul_f32_e32 v1, v6, v77
	v_fmac_f32_e32 v0, v6, v76
	v_fma_f32 v1, v7, v76, -v1
	s_waitcnt vmcnt(14)
	v_mul_f32_e32 v2, v17, v75
	v_mul_f32_e32 v3, v16, v75
	v_fmac_f32_e32 v2, v16, v74
	v_fma_f32 v3, v17, v74, -v3
	;; [unrolled: 5-line block ×3, first 2 shown]
	ds_write_b64 v101, v[8:9] offset:144
	s_waitcnt vmcnt(6)
	v_mul_f32_e32 v8, v27, v65
	v_mul_f32_e32 v9, v26, v65
	v_fmac_f32_e32 v8, v26, v64
	v_fma_f32 v9, v27, v64, -v9
	ds_write2_b64 v101, v[0:1], v[8:9] offset0:36 offset1:45
	s_waitcnt vmcnt(3)
	v_mul_f32_e32 v0, v29, v73
	v_mul_f32_e32 v1, v28, v73
	v_fmac_f32_e32 v0, v28, v72
	v_fma_f32 v1, v29, v72, -v1
	v_mul_f32_e32 v4, v19, v71
	v_mul_f32_e32 v5, v18, v71
	ds_write2_b64 v101, v[2:3], v[0:1] offset0:63 offset1:72
	s_waitcnt vmcnt(2)
	v_mul_f32_e32 v0, v31, v63
	v_mul_f32_e32 v1, v30, v63
	v_fmac_f32_e32 v4, v18, v70
	v_fma_f32 v5, v19, v70, -v5
	v_fmac_f32_e32 v0, v30, v62
	v_fma_f32 v1, v31, v62, -v1
	v_mul_f32_e32 v6, v23, v69
	v_mul_f32_e32 v7, v22, v69
	ds_write2_b64 v101, v[4:5], v[0:1] offset0:90 offset1:99
	s_waitcnt vmcnt(0)
	v_mul_f32_e32 v0, v33, v61
	v_mul_f32_e32 v1, v32, v61
	v_fmac_f32_e32 v6, v22, v68
	v_fma_f32 v7, v23, v68, -v7
	v_fmac_f32_e32 v0, v32, v60
	v_fma_f32 v1, v33, v60, -v1
	ds_write2_b64 v101, v[6:7], v[0:1] offset0:117 offset1:126
	s_waitcnt lgkmcnt(0)
	s_barrier
	ds_read2_b64 v[0:3], v101 offset1:9
	ds_read2_b64 v[4:7], v101 offset0:36 offset1:45
	ds_read2_b64 v[8:11], v101 offset0:54 offset1:63
	;; [unrolled: 1-line block ×3, first 2 shown]
	v_mul_lo_u16_e32 v22, 5, v84
	v_lshl_add_u32 v105, v22, 3, v40
	ds_read2_b64 v[16:19], v101 offset0:108 offset1:117
	ds_read2_b64 v[26:29], v101 offset0:72 offset1:81
	s_waitcnt lgkmcnt(2)
	v_pk_add_f32 v[22:23], v[10:11], v[12:13]
	ds_read_b64 v[38:39], v101 offset:1008
	v_pk_fma_f32 v[32:33], v[22:23], 0.5, v[2:3] op_sel_hi:[1,0,1] neg_lo:[1,0,0] neg_hi:[1,0,0]
	ds_read2_b64 v[22:25], v101 offset0:18 offset1:27
	s_waitcnt lgkmcnt(2)
	v_pk_add_f32 v[44:45], v[8:9], v[28:29]
	v_pk_add_f32 v[50:51], v[8:9], v[28:29] neg_lo:[0,1] neg_hi:[0,1]
	v_pk_fma_f32 v[44:45], v[44:45], 0.5, v[0:1] op_sel_hi:[1,0,1] neg_lo:[1,0,0] neg_hi:[1,0,0]
	v_pk_add_f32 v[54:55], v[16:17], v[28:29] neg_lo:[0,1] neg_hi:[0,1]
	s_waitcnt lgkmcnt(0)
	v_pk_add_f32 v[46:47], v[24:25], v[16:17] neg_lo:[0,1] neg_hi:[0,1]
	v_pk_add_f32 v[52:53], v[24:25], v[8:9] neg_lo:[0,1] neg_hi:[0,1]
	v_pk_mul_f32 v[48:49], v[46:47], s[12:13] op_sel_hi:[1,0]
	v_pk_add_f32 v[42:43], v[0:1], v[24:25]
	v_pk_add_f32 v[54:55], v[52:53], v[54:55]
	v_pk_add_f32 v[52:53], v[44:45], v[48:49] op_sel:[0,1] op_sel_hi:[1,0]
	v_pk_add_f32 v[44:45], v[44:45], v[48:49] op_sel:[0,1] op_sel_hi:[1,0] neg_lo:[0,1] neg_hi:[0,1]
	v_pk_mul_f32 v[48:49], v[50:51], s[18:19] op_sel_hi:[1,0]
	v_pk_add_f32 v[42:43], v[42:43], v[8:9]
	v_pk_add_f32 v[58:59], v[44:45], v[48:49] op_sel:[0,1] op_sel_hi:[1,0] neg_lo:[0,1] neg_hi:[0,1]
	v_pk_add_f32 v[92:93], v[52:53], v[48:49] op_sel:[0,1] op_sel_hi:[1,0]
	v_pk_add_f32 v[42:43], v[42:43], v[28:29]
	v_mov_b32_e32 v44, v92
	v_mov_b32_e32 v45, v59
	v_pk_add_f32 v[42:43], v[42:43], v[16:17]
	v_pk_fma_f32 v[44:45], v[54:55], s[14:15], v[44:45] op_sel_hi:[1,0,1]
	s_barrier
	ds_write2_b64 v105, v[42:43], v[44:45] offset1:1
	v_pk_add_f32 v[42:43], v[4:5], v[18:19]
	v_pk_add_f32 v[30:31], v[2:3], v[4:5]
	v_pk_add_f32 v[34:35], v[4:5], v[18:19] neg_lo:[0,1] neg_hi:[0,1]
	v_pk_fma_f32 v[2:3], v[42:43], 0.5, v[2:3] op_sel_hi:[1,0,1] neg_lo:[1,0,0] neg_hi:[1,0,0]
	v_pk_add_f32 v[42:43], v[24:25], v[16:17]
	v_pk_mul_f32 v[36:37], v[34:35], s[12:13] op_sel_hi:[1,0]
	v_pk_fma_f32 v[0:1], v[42:43], 0.5, v[0:1] op_sel_hi:[1,0,1] neg_lo:[1,0,0] neg_hi:[1,0,0]
	v_pk_add_f32 v[42:43], v[4:5], v[10:11] neg_lo:[0,1] neg_hi:[0,1]
	v_pk_add_f32 v[44:45], v[18:19], v[12:13] neg_lo:[0,1] neg_hi:[0,1]
	;; [unrolled: 1-line block ×3, first 2 shown]
	v_pk_add_f32 v[42:43], v[42:43], v[44:45]
	v_pk_add_f32 v[44:45], v[32:33], v[36:37] op_sel:[0,1] op_sel_hi:[1,0]
	v_pk_add_f32 v[32:33], v[32:33], v[36:37] op_sel:[0,1] op_sel_hi:[1,0] neg_lo:[0,1] neg_hi:[0,1]
	v_pk_add_f32 v[36:37], v[10:11], v[12:13] neg_lo:[0,1] neg_hi:[0,1]
	v_pk_mul_f32 v[34:35], v[34:35], s[18:19] op_sel_hi:[1,0]
	v_pk_mul_f32 v[48:49], v[36:37], s[18:19] op_sel_hi:[1,0]
	;; [unrolled: 1-line block ×3, first 2 shown]
	v_pk_add_f32 v[32:33], v[32:33], v[48:49] op_sel:[0,1] op_sel_hi:[1,0] neg_lo:[0,1] neg_hi:[0,1]
	v_pk_add_f32 v[44:45], v[44:45], v[48:49] op_sel:[0,1] op_sel_hi:[1,0]
	v_pk_add_f32 v[48:49], v[12:13], v[18:19] neg_lo:[0,1] neg_hi:[0,1]
	v_pk_add_f32 v[10:11], v[30:31], v[10:11]
	v_pk_add_f32 v[4:5], v[4:5], v[48:49]
	v_pk_add_f32 v[48:49], v[2:3], v[36:37] op_sel:[0,1] op_sel_hi:[1,0] neg_lo:[0,1] neg_hi:[0,1]
	v_pk_add_f32 v[2:3], v[2:3], v[36:37] op_sel:[0,1] op_sel_hi:[1,0]
	v_pk_add_f32 v[8:9], v[8:9], v[24:25] neg_lo:[0,1] neg_hi:[0,1]
	v_pk_add_f32 v[2:3], v[2:3], v[34:35] op_sel:[0,1] op_sel_hi:[1,0] neg_lo:[0,1] neg_hi:[0,1]
	v_pk_add_f32 v[34:35], v[48:49], v[34:35] op_sel:[0,1] op_sel_hi:[1,0]
	v_mov_b32_e32 v37, v3
	v_mov_b32_e32 v36, v34
	;; [unrolled: 1-line block ×3, first 2 shown]
	v_pk_add_f32 v[10:11], v[10:11], v[12:13]
	v_pk_add_f32 v[12:13], v[28:29], v[16:17] neg_lo:[0,1] neg_hi:[0,1]
	v_pk_fma_f32 v[34:35], v[4:5], s[14:15], v[36:37] op_sel_hi:[1,0,1]
	v_pk_fma_f32 v[2:3], v[4:5], s[14:15], v[2:3] op_sel_hi:[1,0,1]
	v_mov_b32_e32 v4, v44
	v_mov_b32_e32 v5, v33
	;; [unrolled: 1-line block ×3, first 2 shown]
	v_lshl_add_u64 v[44:45], v[84:85], 0, 9
	v_pk_add_f32 v[8:9], v[8:9], v[12:13]
	v_pk_mul_f32 v[12:13], v[50:51], s[12:13] op_sel_hi:[1,0]
	v_lshl_add_u64 v[48:49], v[84:85], 0, 18
	v_pk_add_f32 v[16:17], v[0:1], v[12:13] op_sel:[0,1] op_sel_hi:[1,0] neg_lo:[0,1] neg_hi:[0,1]
	v_pk_add_f32 v[0:1], v[0:1], v[12:13] op_sel:[0,1] op_sel_hi:[1,0]
	v_mul_u32_u24_e32 v12, 5, v44
	v_lshl_add_u32 v109, v12, 3, v40
	v_mul_u32_u24_e32 v12, 5, v48
	v_lshl_add_u32 v107, v12, 3, v40
	v_pk_mul_f32 v[12:13], v[46:47], s[18:19] op_sel_hi:[1,0]
	v_mov_b32_e32 v59, v93
	v_pk_add_f32 v[0:1], v[0:1], v[12:13] op_sel:[0,1] op_sel_hi:[1,0] neg_lo:[0,1] neg_hi:[0,1]
	v_pk_add_f32 v[12:13], v[16:17], v[12:13] op_sel:[0,1] op_sel_hi:[1,0]
	v_mov_b32_e32 v17, v1
	v_mov_b32_e32 v16, v12
	;; [unrolled: 1-line block ×3, first 2 shown]
	v_pk_fma_f32 v[16:17], v[8:9], s[14:15], v[16:17] op_sel_hi:[1,0,1]
	v_pk_fma_f32 v[0:1], v[8:9], s[14:15], v[0:1] op_sel_hi:[1,0,1]
	ds_write2_b64 v105, v[16:17], v[0:1] offset0:2 offset1:3
	v_pk_fma_f32 v[0:1], v[54:55], s[14:15], v[58:59] op_sel_hi:[1,0,1]
	v_pk_fma_f32 v[4:5], v[42:43], s[14:15], v[4:5] op_sel_hi:[1,0,1]
	;; [unrolled: 1-line block ×3, first 2 shown]
	v_pk_add_f32 v[10:11], v[10:11], v[18:19]
	ds_write_b64 v105, v[0:1] offset:32
	ds_write2_b64 v109, v[10:11], v[4:5] offset1:1
	ds_write2_b64 v109, v[34:35], v[2:3] offset0:2 offset1:3
	ds_write_b64 v109, v[32:33] offset:32
	v_pk_add_f32 v[0:1], v[26:27], v[14:15]
	v_pk_add_f32 v[2:3], v[6:7], v[38:39] neg_lo:[0,1] neg_hi:[0,1]
	v_pk_fma_f32 v[0:1], v[0:1], 0.5, v[22:23] op_sel_hi:[1,0,1] neg_lo:[1,0,0] neg_hi:[1,0,0]
	v_pk_mul_f32 v[4:5], v[2:3], s[12:13] op_sel_hi:[1,0]
	v_pk_add_f32 v[8:9], v[26:27], v[14:15] neg_lo:[0,1] neg_hi:[0,1]
	v_pk_add_f32 v[16:17], v[6:7], v[26:27] neg_lo:[0,1] neg_hi:[0,1]
	;; [unrolled: 1-line block ×3, first 2 shown]
	v_pk_add_f32 v[12:13], v[22:23], v[6:7]
	v_pk_mul_f32 v[10:11], v[8:9], s[18:19] op_sel_hi:[1,0]
	v_pk_add_f32 v[16:17], v[16:17], v[18:19]
	v_pk_add_f32 v[18:19], v[0:1], v[4:5] op_sel:[0,1] op_sel_hi:[1,0]
	v_pk_add_f32 v[0:1], v[0:1], v[4:5] op_sel:[0,1] op_sel_hi:[1,0] neg_lo:[0,1] neg_hi:[0,1]
	v_pk_add_f32 v[12:13], v[12:13], v[26:27]
	v_pk_add_f32 v[0:1], v[0:1], v[10:11] op_sel:[0,1] op_sel_hi:[1,0] neg_lo:[0,1] neg_hi:[0,1]
	v_pk_add_f32 v[4:5], v[18:19], v[10:11] op_sel:[0,1] op_sel_hi:[1,0]
	v_pk_add_f32 v[12:13], v[12:13], v[14:15]
	v_mov_b32_e32 v10, v4
	v_mov_b32_e32 v11, v1
	;; [unrolled: 1-line block ×3, first 2 shown]
	v_lshl_add_u64 v[52:53], v[84:85], 0, 27
	v_pk_add_f32 v[12:13], v[12:13], v[38:39]
	v_pk_fma_f32 v[10:11], v[16:17], s[14:15], v[10:11] op_sel_hi:[1,0,1]
	v_pk_fma_f32 v[0:1], v[16:17], s[14:15], v[0:1] op_sel_hi:[1,0,1]
	ds_write2_b64 v107, v[12:13], v[10:11] offset1:1
	v_pk_add_f32 v[10:11], v[6:7], v[38:39]
	ds_write_b64 v107, v[0:1] offset:32
	v_mul_lo_u16_sdwa v0, v52, s2 dst_sel:DWORD dst_unused:UNUSED_PAD src0_sel:BYTE_0 src1_sel:DWORD
	v_pk_fma_f32 v[10:11], v[10:11], 0.5, v[22:23] op_sel_hi:[1,0,1] neg_lo:[1,0,0] neg_hi:[1,0,0]
	v_pk_add_f32 v[6:7], v[26:27], v[6:7] neg_lo:[0,1] neg_hi:[0,1]
	v_pk_add_f32 v[12:13], v[14:15], v[38:39] neg_lo:[0,1] neg_hi:[0,1]
	v_pk_mul_f32 v[8:9], v[8:9], s[12:13] op_sel_hi:[1,0]
	v_lshrrev_b16_e32 v41, 10, v0
	v_pk_add_f32 v[6:7], v[6:7], v[12:13]
	v_pk_mul_f32 v[2:3], v[2:3], s[18:19] op_sel_hi:[1,0]
	v_pk_add_f32 v[12:13], v[10:11], v[8:9] op_sel:[0,1] op_sel_hi:[1,0] neg_lo:[0,1] neg_hi:[0,1]
	v_pk_add_f32 v[8:9], v[10:11], v[8:9] op_sel:[0,1] op_sel_hi:[1,0]
	v_mul_lo_u16_e32 v0, 5, v41
	v_pk_add_f32 v[8:9], v[8:9], v[2:3] op_sel:[0,1] op_sel_hi:[1,0] neg_lo:[0,1] neg_hi:[0,1]
	v_pk_add_f32 v[2:3], v[12:13], v[2:3] op_sel:[0,1] op_sel_hi:[1,0]
	v_sub_u16_e32 v49, v52, v0
	v_mul_lo_u16_sdwa v0, v56, s2 dst_sel:DWORD dst_unused:UNUSED_PAD src0_sel:BYTE_0 src1_sel:DWORD
	v_mul_lo_u16_sdwa v12, v44, s2 dst_sel:DWORD dst_unused:UNUSED_PAD src0_sel:BYTE_0 src1_sel:DWORD
	v_lshrrev_b16_e32 v53, 10, v0
	v_lshrrev_b16_e32 v108, 10, v12
	v_mul_lo_u16_e32 v0, 5, v53
	v_mul_lo_u16_e32 v12, 5, v108
	v_sub_u16_e32 v57, v56, v0
	v_sub_u16_e32 v124, v44, v12
	v_lshlrev_b16_e32 v0, 1, v57
	v_lshlrev_b16_e32 v12, 1, v124
	v_mov_b32_e32 v10, v2
	v_mov_b32_e32 v11, v9
	;; [unrolled: 1-line block ×3, first 2 shown]
	v_and_b32_e32 v0, 0xfe, v0
	v_and_b32_e32 v12, 0xfe, v12
	v_pk_fma_f32 v[10:11], v[6:7], s[14:15], v[10:11] op_sel_hi:[1,0,1]
	v_pk_fma_f32 v[2:3], v[6:7], s[14:15], v[8:9] op_sel_hi:[1,0,1]
	v_lshlrev_b32_e32 v0, 3, v0
	v_lshlrev_b32_e32 v12, 3, v12
	ds_write2_b64 v107, v[10:11], v[2:3] offset0:2 offset1:3
	s_waitcnt lgkmcnt(0)
	s_barrier
	global_load_dwordx4 v[8:11], v0, s[10:11]
	v_lshl_add_u64 v[16:17], v[84:85], 0, -5
	global_load_dwordx4 v[12:15], v12, s[10:11]
	v_lshlrev_b16_e32 v0, 1, v49
	v_and_b32_e32 v0, 0xfe, v0
	v_lshlrev_b32_e32 v0, 3, v0
	global_load_dwordx4 v[4:7], v0, s[10:11]
	v_mul_lo_u16_sdwa v0, v48, s2 dst_sel:DWORD dst_unused:UNUSED_PAD src0_sel:BYTE_0 src1_sel:DWORD
	v_lshrrev_b16_e32 v104, 10, v0
	v_mul_lo_u16_e32 v0, 5, v104
	v_sub_u16_e32 v106, v48, v0
	v_lshlrev_b16_e32 v0, 1, v106
	v_and_b32_e32 v0, 0xfe, v0
	v_lshlrev_b32_e32 v0, 3, v0
	global_load_dwordx4 v[0:3], v0, s[10:11]
	v_cndmask_b32_e64 v31, v17, 0, vcc
	v_cndmask_b32_e32 v30, v16, v84, vcc
	v_lshl_add_u64 v[16:17], v[30:31], 4, s[10:11]
	global_load_dwordx4 v[16:19], v[16:17], off
	ds_read2_b64 v[22:25], v101 offset0:72 offset1:81
	v_cmp_lt_u16_e32 vcc, 4, v84
	s_mov_b32 s2, 0x3f5db3d7
	v_lshlrev_b32_e32 v48, 4, v48
	s_waitcnt vmcnt(4) lgkmcnt(0)
	v_pk_mul_f32 v[26:27], v[24:25], v[8:9] op_sel:[0,1]
	s_nop 0
	v_pk_fma_f32 v[32:33], v[24:25], v[8:9], v[26:27] op_sel:[0,0,1] op_sel_hi:[1,1,0] neg_lo:[0,0,1] neg_hi:[0,0,1]
	v_pk_fma_f32 v[34:35], v[24:25], v[8:9], v[26:27] op_sel:[0,0,1] op_sel_hi:[1,0,0]
	ds_read2_b64 v[24:27], v101 offset0:108 offset1:117
	s_waitcnt vmcnt(3)
	v_mov_b32_e32 v98, v15
	v_mov_b32_e32 v33, v35
	s_waitcnt vmcnt(2)
	v_pk_mul_f32 v[28:29], v[22:23], v[4:5] op_sel:[0,1]
	v_mov_b32_e32 v102, v7
	v_pk_fma_f32 v[36:37], v[22:23], v[4:5], v[28:29] op_sel:[0,0,1] op_sel_hi:[1,1,0] neg_lo:[0,0,1] neg_hi:[0,0,1]
	v_pk_fma_f32 v[38:39], v[22:23], v[4:5], v[28:29] op_sel:[0,0,1] op_sel_hi:[1,0,0]
	s_waitcnt lgkmcnt(0)
	v_pk_mul_f32 v[22:23], v[26:27], v[102:103] op_sel_hi:[1,0]
	v_mov_b32_e32 v37, v39
	v_pk_fma_f32 v[42:43], v[26:27], v[6:7], v[22:23] op_sel:[0,0,1] op_sel_hi:[1,1,0] neg_lo:[0,0,1] neg_hi:[0,0,1]
	v_pk_fma_f32 v[46:47], v[26:27], v[6:7], v[22:23] op_sel:[0,0,1] op_sel_hi:[1,0,0]
	ds_read2_b64 v[26:29], v101 offset0:54 offset1:63
	s_waitcnt vmcnt(1)
	v_mov_b32_e32 v100, v3
	v_pk_mul_f32 v[22:23], v[24:25], v[100:101] op_sel_hi:[1,0]
	v_mad_legacy_u16 v7, v108, 15, v124
	v_pk_fma_f32 v[50:51], v[24:25], v[2:3], v[22:23] op_sel:[0,0,1] op_sel_hi:[1,1,0] neg_lo:[0,0,1] neg_hi:[0,0,1]
	v_pk_fma_f32 v[54:55], v[24:25], v[2:3], v[22:23] op_sel:[0,0,1] op_sel_hi:[1,0,0]
	s_waitcnt lgkmcnt(0)
	v_pk_mul_f32 v[22:23], v[28:29], v[0:1] op_sel:[0,1]
	s_waitcnt vmcnt(0)
	v_mov_b32_e32 v96, v19
	v_pk_fma_f32 v[58:59], v[28:29], v[0:1], v[22:23] op_sel:[0,0,1] op_sel_hi:[1,1,0] neg_lo:[0,0,1] neg_hi:[0,0,1]
	v_pk_fma_f32 v[92:93], v[28:29], v[0:1], v[22:23] op_sel:[0,0,1] op_sel_hi:[1,0,0]
	ds_read2_b64 v[22:25], v101 offset0:90 offset1:99
	v_pk_mul_f32 v[28:29], v[26:27], v[12:13] op_sel:[0,1]
	v_cndmask_b32_e64 v3, 0, 15, vcc
	v_pk_fma_f32 v[94:95], v[26:27], v[12:13], v[28:29] op_sel:[0,0,1] op_sel_hi:[1,1,0] neg_lo:[0,0,1] neg_hi:[0,0,1]
	v_pk_fma_f32 v[110:111], v[26:27], v[12:13], v[28:29] op_sel:[0,0,1] op_sel_hi:[1,0,0]
	s_waitcnt lgkmcnt(0)
	v_pk_mul_f32 v[26:27], v[24:25], v[98:99] op_sel_hi:[1,0]
	v_pk_mul_f32 v[28:29], v[22:23], v[96:97] op_sel_hi:[1,0]
	v_pk_fma_f32 v[112:113], v[24:25], v[14:15], v[26:27] op_sel:[0,0,1] op_sel_hi:[1,1,0] neg_lo:[0,0,1] neg_hi:[0,0,1]
	v_pk_fma_f32 v[114:115], v[24:25], v[14:15], v[26:27] op_sel:[0,0,1] op_sel_hi:[1,0,0]
	ds_read2_b64 v[24:27], v101 offset0:36 offset1:45
	v_pk_fma_f32 v[116:117], v[22:23], v[18:19], v[28:29] op_sel:[0,0,1] op_sel_hi:[1,1,0] neg_lo:[0,0,1] neg_hi:[0,0,1]
	v_pk_fma_f32 v[22:23], v[22:23], v[18:19], v[28:29] op_sel:[0,0,1] op_sel_hi:[1,0,0]
	v_add_u32_e32 v3, v30, v3
	ds_read2_b64 v[28:31], v101 offset1:9
	s_waitcnt lgkmcnt(1)
	v_pk_mul_f32 v[118:119], v[26:27], v[16:17] op_sel:[0,1]
	v_mov_b32_e32 v117, v23
	v_pk_fma_f32 v[120:121], v[26:27], v[16:17], v[118:119] op_sel:[0,0,1] op_sel_hi:[1,1,0] neg_lo:[0,0,1] neg_hi:[0,0,1]
	v_pk_fma_f32 v[26:27], v[26:27], v[16:17], v[118:119] op_sel:[0,0,1] op_sel_hi:[1,0,0]
	v_lshl_add_u32 v3, v3, 3, v40
	v_mov_b32_e32 v121, v27
	s_waitcnt lgkmcnt(0)
	v_pk_add_f32 v[22:23], v[28:29], v[120:121]
	v_pk_add_f32 v[26:27], v[120:121], v[116:117]
	;; [unrolled: 1-line block ×3, first 2 shown]
	v_pk_add_f32 v[116:117], v[120:121], v[116:117] neg_lo:[0,1] neg_hi:[0,1]
	v_pk_fma_f32 v[26:27], v[26:27], 0.5, v[28:29] op_sel_hi:[1,0,1] neg_lo:[1,0,0] neg_hi:[1,0,0]
	v_pk_mul_f32 v[28:29], v[116:117], s[2:3] op_sel_hi:[1,0]
	v_mov_b32_e32 v95, v111
	v_pk_add_f32 v[116:117], v[26:27], v[28:29] op_sel:[0,1] op_sel_hi:[1,0]
	v_pk_add_f32 v[118:119], v[26:27], v[28:29] op_sel:[0,1] op_sel_hi:[1,0] neg_lo:[0,1] neg_hi:[0,1]
	v_mov_b32_e32 v122, v116
	v_mov_b32_e32 v123, v119
	;; [unrolled: 1-line block ×3, first 2 shown]
	ds_read_b64 v[120:121], v101 offset:1008
	ds_read2_b64 v[26:29], v101 offset0:18 offset1:27
	s_waitcnt lgkmcnt(0)
	s_barrier
	ds_write2_b64 v3, v[22:23], v[122:123] offset1:5
	v_pk_add_f32 v[22:23], v[94:95], v[112:113]
	v_and_b32_e32 v7, 0xff, v7
	v_pk_fma_f32 v[22:23], v[22:23], 0.5, v[30:31] op_sel_hi:[1,0,1] neg_lo:[1,0,0] neg_hi:[1,0,0]
	v_pk_add_f32 v[30:31], v[30:31], v[94:95]
	v_pk_add_f32 v[94:95], v[94:95], v[112:113] neg_lo:[0,1] neg_hi:[0,1]
	v_mov_b32_e32 v119, v117
	v_pk_mul_f32 v[94:95], v[94:95], s[2:3] op_sel_hi:[1,0]
	v_lshl_add_u32 v7, v7, 3, v40
	v_pk_add_f32 v[110:111], v[22:23], v[94:95] op_sel:[0,1] op_sel_hi:[1,0]
	v_pk_add_f32 v[22:23], v[22:23], v[94:95] op_sel:[0,1] op_sel_hi:[1,0] neg_lo:[0,1] neg_hi:[0,1]
	v_mov_b32_e32 v59, v93
	v_mov_b32_e32 v95, v23
	;; [unrolled: 1-line block ×3, first 2 shown]
	ds_write_b64 v3, v[118:119] offset:80
	v_pk_add_f32 v[30:31], v[30:31], v[112:113]
	v_mov_b32_e32 v94, v110
	v_mov_b32_e32 v51, v55
	ds_write_b64 v7, v[22:23] offset:80
	v_pk_add_f32 v[22:23], v[26:27], v[58:59]
	ds_write2_b64 v7, v[30:31], v[94:95] offset1:5
	v_pk_add_f32 v[22:23], v[22:23], v[50:51]
	v_pk_add_f32 v[30:31], v[58:59], v[50:51]
	v_pk_add_f32 v[50:51], v[58:59], v[50:51] neg_lo:[0,1] neg_hi:[0,1]
	v_pk_fma_f32 v[26:27], v[30:31], 0.5, v[26:27] op_sel_hi:[1,0,1] neg_lo:[1,0,0] neg_hi:[1,0,0]
	v_pk_mul_f32 v[30:31], v[50:51], s[2:3] op_sel_hi:[1,0]
	v_mad_legacy_u16 v15, v104, 15, v106
	v_pk_add_f32 v[50:51], v[26:27], v[30:31] op_sel:[0,1] op_sel_hi:[1,0]
	v_pk_add_f32 v[26:27], v[26:27], v[30:31] op_sel:[0,1] op_sel_hi:[1,0] neg_lo:[0,1] neg_hi:[0,1]
	v_and_b32_e32 v15, 0xff, v15
	v_lshl_add_u32 v15, v15, 3, v40
	v_mov_b32_e32 v30, v50
	v_mov_b32_e32 v31, v27
	;; [unrolled: 1-line block ×3, first 2 shown]
	ds_write2_b64 v15, v[22:23], v[30:31] offset1:5
	v_pk_add_f32 v[22:23], v[36:37], v[42:43]
	v_mov_b32_e32 v27, v51
	v_pk_fma_f32 v[22:23], v[22:23], 0.5, v[28:29] op_sel_hi:[1,0,1] neg_lo:[1,0,0] neg_hi:[1,0,0]
	v_pk_add_f32 v[28:29], v[28:29], v[36:37]
	ds_write_b64 v15, v[26:27] offset:80
	v_pk_add_f32 v[26:27], v[28:29], v[42:43]
	v_pk_add_f32 v[28:29], v[36:37], v[42:43] neg_lo:[0,1] neg_hi:[0,1]
	v_mad_legacy_u16 v19, v41, 15, v49
	v_pk_mul_f32 v[28:29], v[28:29], s[2:3] op_sel_hi:[1,0]
	v_and_b32_e32 v19, 0xff, v19
	v_pk_add_f32 v[30:31], v[22:23], v[28:29] op_sel:[0,1] op_sel_hi:[1,0]
	v_pk_add_f32 v[22:23], v[22:23], v[28:29] op_sel:[0,1] op_sel_hi:[1,0] neg_lo:[0,1] neg_hi:[0,1]
	v_lshl_add_u32 v19, v19, 3, v40
	v_mov_b32_e32 v28, v30
	v_mov_b32_e32 v29, v23
	;; [unrolled: 1-line block ×3, first 2 shown]
	ds_write2_b64 v19, v[26:27], v[28:29] offset1:5
	v_pk_mul_f32 v[26:27], v[120:121], v[112:113] op_sel_hi:[1,0]
	v_mov_b32_e32 v23, v31
	v_pk_fma_f32 v[28:29], v[120:121], v[10:11], v[26:27] op_sel:[0,0,1] op_sel_hi:[1,1,0] neg_lo:[0,0,1] neg_hi:[0,0,1]
	v_pk_fma_f32 v[26:27], v[120:121], v[10:11], v[26:27] op_sel:[0,0,1] op_sel_hi:[1,0,0]
	ds_write_b64 v19, v[22:23] offset:80
	v_mov_b32_e32 v29, v27
	v_pk_add_f32 v[26:27], v[32:33], v[28:29]
	v_mad_legacy_u16 v11, v53, 15, v57
	v_pk_fma_f32 v[26:27], v[26:27], 0.5, v[24:25] op_sel_hi:[1,0,1] neg_lo:[1,0,0] neg_hi:[1,0,0]
	v_pk_add_f32 v[24:25], v[24:25], v[32:33]
	v_and_b32_e32 v11, 0xff, v11
	v_pk_add_f32 v[22:23], v[24:25], v[28:29]
	v_pk_add_f32 v[24:25], v[32:33], v[28:29] neg_lo:[0,1] neg_hi:[0,1]
	v_lshl_add_u32 v11, v11, 3, v40
	v_pk_mul_f32 v[24:25], v[24:25], s[2:3] op_sel_hi:[1,0]
	v_mad_u64_u32 v[92:93], s[20:21], s6, v20, 0
	v_pk_add_f32 v[28:29], v[26:27], v[24:25] op_sel:[0,1] op_sel_hi:[1,0]
	v_pk_add_f32 v[24:25], v[26:27], v[24:25] op_sel:[0,1] op_sel_hi:[1,0] neg_lo:[0,1] neg_hi:[0,1]
	v_mov_b32_e32 v26, v28
	v_mov_b32_e32 v27, v25
	ds_write2_b64 v11, v[22:23], v[26:27] offset1:5
	v_mov_b32_e32 v22, v93
	s_movk_i32 s3, 0x89
	v_mad_u64_u32 v[94:95], s[6:7], s7, v20, v[22:23]
	v_mul_lo_u16_sdwa v20, v52, s3 dst_sel:DWORD dst_unused:UNUSED_PAD src0_sel:BYTE_0 src1_sel:DWORD
	v_lshrrev_b16_e32 v41, 11, v20
	v_mul_lo_u16_sdwa v20, v56, s3 dst_sel:DWORD dst_unused:UNUSED_PAD src0_sel:BYTE_0 src1_sel:DWORD
	v_lshrrev_b16_e32 v20, 11, v20
	v_mul_lo_u16_e32 v20, 15, v20
	v_sub_u16_e32 v49, v56, v20
	v_lshlrev_b16_e32 v20, 4, v49
	v_and_b32_e32 v20, 0xf0, v20
	v_mov_b32_e32 v25, v29
	v_lshl_add_u64 v[20:21], s[10:11], 0, v[20:21]
	ds_write_b64 v11, v[24:25] offset:80
	s_waitcnt lgkmcnt(0)
	s_barrier
	global_load_dwordx4 v[20:23], v[20:21], off offset:80
	v_mul_lo_u16_e32 v24, 15, v41
	v_sub_u16_e32 v53, v52, v24
	v_mov_b32_e32 v24, 4
	v_lshlrev_b32_sdwa v24, v24, v53 dst_sel:DWORD dst_unused:UNUSED_PAD src0_sel:DWORD src1_sel:BYTE_0
	global_load_dwordx4 v[24:27], v24, s[10:11] offset:80
	v_lshlrev_b32_e32 v57, 4, v84
	global_load_dwordx4 v[28:31], v57, s[10:11] offset:128
	v_lshl_add_u64 v[32:33], v[84:85], 0, -6
	v_cmp_gt_u16_e32 vcc, 6, v84
	v_lshlrev_b32_e32 v52, 4, v52
	v_mov_b32_e32 v93, v94
	v_cndmask_b32_e32 v43, v33, v45, vcc
	v_cndmask_b32_e32 v42, v32, v44, vcc
	v_lshl_add_u64 v[46:47], v[42:43], 4, s[10:11]
	global_load_dwordx4 v[32:35], v[46:47], off offset:80
	global_load_dwordx4 v[36:39], v57, s[10:11] offset:80
	ds_read2_b64 v[114:117], v101 offset0:72 offset1:81
	v_cmp_lt_u16_e32 vcc, 5, v84
	v_lshlrev_b32_e32 v44, 4, v44
	s_waitcnt vmcnt(4) lgkmcnt(0)
	v_pk_mul_f32 v[46:47], v[116:117], v[20:21] op_sel:[0,1]
	s_nop 0
	v_pk_fma_f32 v[50:51], v[116:117], v[20:21], v[46:47] op_sel:[0,0,1] op_sel_hi:[1,1,0] neg_lo:[0,0,1] neg_hi:[0,0,1]
	v_pk_fma_f32 v[46:47], v[116:117], v[20:21], v[46:47] op_sel:[0,0,1] op_sel_hi:[1,0,0]
	ds_read2_b64 v[116:119], v101 offset0:108 offset1:117
	v_mov_b32_e32 v51, v47
	s_waitcnt vmcnt(3)
	v_pk_mul_f32 v[54:55], v[114:115], v[24:25] op_sel:[0,1]
	v_mov_b32_e32 v110, v27
	v_pk_fma_f32 v[58:59], v[114:115], v[24:25], v[54:55] op_sel:[0,0,1] op_sel_hi:[1,1,0] neg_lo:[0,0,1] neg_hi:[0,0,1]
	v_pk_fma_f32 v[54:55], v[114:115], v[24:25], v[54:55] op_sel:[0,0,1] op_sel_hi:[1,0,0]
	s_waitcnt lgkmcnt(0)
	v_pk_mul_f32 v[114:115], v[118:119], v[110:111] op_sel_hi:[1,0]
	s_waitcnt vmcnt(2)
	v_mov_b32_e32 v106, v31
	v_pk_fma_f32 v[124:125], v[118:119], v[26:27], v[114:115] op_sel:[0,0,1] op_sel_hi:[1,1,0] neg_lo:[0,0,1] neg_hi:[0,0,1]
	v_pk_fma_f32 v[126:127], v[118:119], v[26:27], v[114:115] op_sel:[0,0,1] op_sel_hi:[1,0,0]
	ds_read2_b64 v[118:121], v101 offset0:54 offset1:63
	v_pk_mul_f32 v[114:115], v[116:117], v[106:107] op_sel_hi:[1,0]
	s_waitcnt vmcnt(0)
	v_mov_b32_e32 v104, v39
	v_pk_fma_f32 v[128:129], v[116:117], v[30:31], v[114:115] op_sel:[0,0,1] op_sel_hi:[1,1,0] neg_lo:[0,0,1] neg_hi:[0,0,1]
	v_pk_fma_f32 v[130:131], v[116:117], v[30:31], v[114:115] op_sel:[0,0,1] op_sel_hi:[1,0,0]
	s_waitcnt lgkmcnt(0)
	v_pk_mul_f32 v[114:115], v[120:121], v[28:29] op_sel:[0,1]
	v_mov_b32_e32 v108, v35
	v_pk_fma_f32 v[132:133], v[120:121], v[28:29], v[114:115] op_sel:[0,0,1] op_sel_hi:[1,1,0] neg_lo:[0,0,1] neg_hi:[0,0,1]
	v_pk_fma_f32 v[134:135], v[120:121], v[28:29], v[114:115] op_sel:[0,0,1] op_sel_hi:[1,0,0]
	ds_read2_b64 v[114:117], v101 offset0:90 offset1:99
	v_pk_mul_f32 v[120:121], v[118:119], v[32:33] op_sel:[0,1]
	v_cndmask_b32_e64 v27, 0, 45, vcc
	v_pk_fma_f32 v[136:137], v[118:119], v[32:33], v[120:121] op_sel:[0,0,1] op_sel_hi:[1,1,0] neg_lo:[0,0,1] neg_hi:[0,0,1]
	v_pk_fma_f32 v[138:139], v[118:119], v[32:33], v[120:121] op_sel:[0,0,1] op_sel_hi:[1,0,0]
	s_waitcnt lgkmcnt(0)
	v_pk_mul_f32 v[118:119], v[114:115], v[104:105] op_sel_hi:[1,0]
	v_mov_b32_e32 v137, v139
	v_pk_fma_f32 v[122:123], v[114:115], v[38:39], v[118:119] op_sel:[0,0,1] op_sel_hi:[1,1,0] neg_lo:[0,0,1] neg_hi:[0,0,1]
	v_pk_fma_f32 v[140:141], v[114:115], v[38:39], v[118:119] op_sel:[0,0,1] op_sel_hi:[1,0,0]
	ds_read2_b64 v[118:121], v101 offset0:36 offset1:45
	v_pk_mul_f32 v[114:115], v[116:117], v[108:109] op_sel_hi:[1,0]
	v_mov_b32_e32 v123, v141
	v_pk_fma_f32 v[142:143], v[116:117], v[34:35], v[114:115] op_sel:[0,0,1] op_sel_hi:[1,1,0] neg_lo:[0,0,1] neg_hi:[0,0,1]
	v_pk_fma_f32 v[144:145], v[116:117], v[34:35], v[114:115] op_sel:[0,0,1] op_sel_hi:[1,0,0]
	s_waitcnt lgkmcnt(0)
	v_pk_mul_f32 v[114:115], v[120:121], v[36:37] op_sel:[0,1]
	v_mov_b32_e32 v143, v145
	v_pk_fma_f32 v[146:147], v[120:121], v[36:37], v[114:115] op_sel:[0,0,1] op_sel_hi:[1,1,0] neg_lo:[0,0,1] neg_hi:[0,0,1]
	v_pk_fma_f32 v[114:115], v[120:121], v[36:37], v[114:115] op_sel:[0,0,1] op_sel_hi:[1,0,0]
	v_add_u32_e32 v27, v42, v27
	v_mov_b32_e32 v147, v115
	ds_read2_b64 v[114:117], v101 offset1:9
	v_pk_add_f32 v[42:43], v[136:137], v[142:143]
	v_lshl_add_u32 v31, v27, 3, v40
	v_mov_b32_e32 v133, v135
	v_mov_b32_e32 v129, v131
	s_waitcnt lgkmcnt(0)
	v_pk_add_f32 v[120:121], v[114:115], v[146:147]
	v_pk_fma_f32 v[42:43], v[42:43], 0.5, v[116:117] op_sel_hi:[1,0,1] neg_lo:[1,0,0] neg_hi:[1,0,0]
	v_pk_add_f32 v[140:141], v[120:121], v[122:123]
	v_pk_add_f32 v[120:121], v[146:147], v[122:123]
	v_pk_add_f32 v[122:123], v[146:147], v[122:123] neg_lo:[0,1] neg_hi:[0,1]
	v_pk_fma_f32 v[114:115], v[120:121], 0.5, v[114:115] op_sel_hi:[1,0,1] neg_lo:[1,0,0] neg_hi:[1,0,0]
	v_pk_mul_f32 v[120:121], v[122:123], s[2:3] op_sel_hi:[1,0]
	v_pk_add_f32 v[116:117], v[116:117], v[136:137]
	v_pk_add_f32 v[146:147], v[114:115], v[120:121] op_sel:[0,1] op_sel_hi:[1,0] neg_lo:[0,1] neg_hi:[0,1]
	v_pk_add_f32 v[114:115], v[114:115], v[120:121] op_sel:[0,1] op_sel_hi:[1,0]
	ds_read_b64 v[148:149], v101 offset:1008
	ds_read2_b64 v[120:123], v101 offset0:18 offset1:27
	v_mov_b32_e32 v150, v114
	v_mov_b32_e32 v151, v147
	;; [unrolled: 1-line block ×3, first 2 shown]
	v_pk_add_f32 v[114:115], v[116:117], v[142:143]
	v_pk_add_f32 v[116:117], v[136:137], v[142:143] neg_lo:[0,1] neg_hi:[0,1]
	s_waitcnt lgkmcnt(0)
	v_pk_mul_f32 v[116:117], v[116:117], s[2:3] op_sel_hi:[1,0]
	s_barrier
	v_pk_add_f32 v[136:137], v[42:43], v[116:117] op_sel:[0,1] op_sel_hi:[1,0]
	v_pk_add_f32 v[42:43], v[42:43], v[116:117] op_sel:[0,1] op_sel_hi:[1,0] neg_lo:[0,1] neg_hi:[0,1]
	v_mov_b32_e32 v116, v136
	v_mov_b32_e32 v117, v43
	ds_write2_b64 v101, v[140:141], v[150:151] offset1:15
	ds_write_b64 v101, v[146:147] offset:240
	ds_write2_b64 v31, v[114:115], v[116:117] offset1:15
	v_pk_add_f32 v[114:115], v[132:133], v[128:129]
	v_pk_add_f32 v[116:117], v[132:133], v[128:129] neg_lo:[0,1] neg_hi:[0,1]
	v_pk_fma_f32 v[114:115], v[114:115], 0.5, v[120:121] op_sel_hi:[1,0,1] neg_lo:[1,0,0] neg_hi:[1,0,0]
	v_pk_mul_f32 v[116:117], v[116:117], s[2:3] op_sel_hi:[1,0]
	v_mov_b32_e32 v43, v137
	v_pk_add_f32 v[130:131], v[114:115], v[116:117] op_sel:[0,1] op_sel_hi:[1,0] neg_lo:[0,1] neg_hi:[0,1]
	v_pk_add_f32 v[114:115], v[114:115], v[116:117] op_sel:[0,1] op_sel_hi:[1,0]
	ds_write_b64 v31, v[42:43] offset:240
	v_pk_add_f32 v[42:43], v[120:121], v[132:133]
	v_mov_b32_e32 v116, v114
	v_pk_add_f32 v[42:43], v[42:43], v[128:129]
	v_mov_b32_e32 v117, v131
	v_mov_b32_e32 v59, v55
	;; [unrolled: 1-line block ×3, first 2 shown]
	ds_write2_b64 v101, v[42:43], v[116:117] offset0:48 offset1:63
	v_pk_add_f32 v[42:43], v[58:59], v[124:125]
	v_pk_add_f32 v[54:55], v[122:123], v[58:59]
	v_pk_add_f32 v[58:59], v[58:59], v[124:125] neg_lo:[0,1] neg_hi:[0,1]
	v_pk_fma_f32 v[42:43], v[42:43], 0.5, v[122:123] op_sel_hi:[1,0,1] neg_lo:[1,0,0] neg_hi:[1,0,0]
	v_pk_mul_f32 v[58:59], v[58:59], s[2:3] op_sel_hi:[1,0]
	v_mul_u32_u24_e32 v27, 45, v41
	v_mov_b32_e32 v131, v115
	v_pk_add_f32 v[114:115], v[42:43], v[58:59] op_sel:[0,1] op_sel_hi:[1,0]
	v_pk_add_f32 v[42:43], v[42:43], v[58:59] op_sel:[0,1] op_sel_hi:[1,0] neg_lo:[0,1] neg_hi:[0,1]
	v_add_u32_sdwa v27, v27, v53 dst_sel:DWORD dst_unused:UNUSED_PAD src0_sel:DWORD src1_sel:BYTE_0
	v_mov_b32_e32 v122, v23
	v_pk_add_f32 v[54:55], v[54:55], v[124:125]
	v_lshl_add_u32 v27, v27, 3, v40
	v_mov_b32_e32 v58, v114
	v_mov_b32_e32 v59, v43
	v_pk_mul_f32 v[46:47], v[148:149], v[122:123] op_sel_hi:[1,0]
	ds_write_b64 v101, v[130:131] offset:624
	ds_write2_b64 v27, v[54:55], v[58:59] offset1:15
	v_pk_fma_f32 v[54:55], v[148:149], v[22:23], v[46:47] op_sel:[0,0,1] op_sel_hi:[1,1,0] neg_lo:[0,0,1] neg_hi:[0,0,1]
	v_pk_fma_f32 v[46:47], v[148:149], v[22:23], v[46:47] op_sel:[0,0,1] op_sel_hi:[1,0,0]
	v_pk_add_f32 v[58:59], v[118:119], v[50:51]
	v_mov_b32_e32 v55, v47
	v_pk_add_f32 v[46:47], v[50:51], v[54:55]
	v_pk_add_f32 v[50:51], v[50:51], v[54:55] neg_lo:[0,1] neg_hi:[0,1]
	v_pk_fma_f32 v[46:47], v[46:47], 0.5, v[118:119] op_sel_hi:[1,0,1] neg_lo:[1,0,0] neg_hi:[1,0,0]
	v_pk_mul_f32 v[50:51], v[50:51], s[2:3] op_sel_hi:[1,0]
	v_mov_b32_e32 v43, v115
	v_pk_add_f32 v[116:117], v[46:47], v[50:51] op_sel:[0,1] op_sel_hi:[1,0] neg_lo:[0,1] neg_hi:[0,1]
	v_pk_add_f32 v[46:47], v[46:47], v[50:51] op_sel:[0,1] op_sel_hi:[1,0]
	v_and_b32_e32 v23, 0xff, v49
	ds_write_b64 v27, v[42:43] offset:240
	v_pk_add_f32 v[42:43], v[58:59], v[54:55]
	v_lshl_add_u32 v23, v23, 3, v40
	v_mov_b32_e32 v40, v46
	v_mov_b32_e32 v41, v117
	;; [unrolled: 1-line block ×3, first 2 shown]
	ds_write2_b64 v23, v[42:43], v[40:41] offset0:90 offset1:105
	ds_write_b64 v23, v[116:117] offset:960
	s_waitcnt lgkmcnt(0)
	s_barrier
	global_load_dwordx4 v[40:43], v57, s[10:11] offset:320
	ds_read2_b64 v[114:117], v101 offset0:90 offset1:99
	global_load_dwordx4 v[52:55], v52, s[10:11] offset:320
	ds_read2_b64 v[124:127], v101 offset0:54 offset1:63
	global_load_dwordx4 v[44:47], v44, s[10:11] offset:320
	ds_read2_b64 v[128:131], v101 offset0:108 offset1:117
	global_load_dwordx4 v[48:51], v48, s[10:11] offset:320
	s_waitcnt vmcnt(3)
	v_mov_b32_e32 v120, v43
	s_waitcnt lgkmcnt(2)
	v_pk_mul_f32 v[58:59], v[114:115], v[120:121] op_sel_hi:[1,0]
	s_waitcnt vmcnt(1)
	v_mov_b32_e32 v118, v47
	v_pk_fma_f32 v[132:133], v[114:115], v[42:43], v[58:59] op_sel:[0,0,1] op_sel_hi:[1,1,0] neg_lo:[0,0,1] neg_hi:[0,0,1]
	v_pk_fma_f32 v[114:115], v[114:115], v[42:43], v[58:59] op_sel:[0,0,1] op_sel_hi:[1,0,0]
	v_pk_mul_f32 v[58:59], v[116:117], v[118:119] op_sel_hi:[1,0]
	s_waitcnt vmcnt(0)
	v_mov_b32_e32 v114, v51
	v_pk_fma_f32 v[136:137], v[116:117], v[46:47], v[58:59] op_sel:[0,0,1] op_sel_hi:[1,1,0] neg_lo:[0,0,1] neg_hi:[0,0,1]
	v_pk_fma_f32 v[116:117], v[116:117], v[46:47], v[58:59] op_sel:[0,0,1] op_sel_hi:[1,0,0]
	s_waitcnt lgkmcnt(1)
	v_pk_mul_f32 v[58:59], v[124:125], v[44:45] op_sel:[0,1]
	v_mov_b32_e32 v116, v55
	v_pk_fma_f32 v[138:139], v[124:125], v[44:45], v[58:59] op_sel:[0,0,1] op_sel_hi:[1,1,0] neg_lo:[0,0,1] neg_hi:[0,0,1]
	v_pk_fma_f32 v[134:135], v[124:125], v[44:45], v[58:59] op_sel:[0,0,1] op_sel_hi:[1,0,0]
	v_pk_mul_f32 v[58:59], v[126:127], v[48:49] op_sel:[0,1]
	v_lshlrev_b32_e32 v43, 4, v56
	v_pk_fma_f32 v[140:141], v[126:127], v[48:49], v[58:59] op_sel:[0,0,1] op_sel_hi:[1,1,0] neg_lo:[0,0,1] neg_hi:[0,0,1]
	v_pk_fma_f32 v[142:143], v[126:127], v[48:49], v[58:59] op_sel:[0,0,1] op_sel_hi:[1,0,0]
	ds_read2_b64 v[124:127], v101 offset0:72 offset1:81
	s_waitcnt lgkmcnt(1)
	v_pk_mul_f32 v[58:59], v[128:129], v[114:115] op_sel_hi:[1,0]
	v_mov_b32_e32 v133, v115
	v_pk_fma_f32 v[144:145], v[128:129], v[50:51], v[58:59] op_sel:[0,0,1] op_sel_hi:[1,1,0] neg_lo:[0,0,1] neg_hi:[0,0,1]
	v_pk_fma_f32 v[146:147], v[128:129], v[50:51], v[58:59] op_sel:[0,0,1] op_sel_hi:[1,0,0]
	v_pk_mul_f32 v[58:59], v[130:131], v[116:117] op_sel_hi:[1,0]
	s_waitcnt lgkmcnt(0)
	v_pk_mul_f32 v[56:57], v[124:125], v[52:53] op_sel:[0,1]
	v_pk_fma_f32 v[148:149], v[130:131], v[54:55], v[58:59] op_sel:[0,0,1] op_sel_hi:[1,1,0] neg_lo:[0,0,1] neg_hi:[0,0,1]
	v_pk_fma_f32 v[150:151], v[130:131], v[54:55], v[58:59] op_sel:[0,0,1] op_sel_hi:[1,0,0]
	v_pk_fma_f32 v[152:153], v[124:125], v[52:53], v[56:57] op_sel:[0,0,1] op_sel_hi:[1,1,0] neg_lo:[0,0,1] neg_hi:[0,0,1]
	v_pk_fma_f32 v[124:125], v[124:125], v[52:53], v[56:57] op_sel:[0,0,1] op_sel_hi:[1,0,0]
	global_load_dwordx4 v[56:59], v43, s[10:11] offset:320
	v_mov_b32_e32 v139, v135
	v_mov_b32_e32 v137, v117
	;; [unrolled: 1-line block ×6, first 2 shown]
	s_waitcnt vmcnt(0)
	v_pk_mul_f32 v[128:129], v[126:127], v[56:57] op_sel:[0,1]
	s_nop 0
	v_pk_fma_f32 v[154:155], v[126:127], v[56:57], v[128:129] op_sel:[0,0,1] op_sel_hi:[1,1,0] neg_lo:[0,0,1] neg_hi:[0,0,1]
	v_pk_fma_f32 v[156:157], v[126:127], v[56:57], v[128:129] op_sel:[0,0,1] op_sel_hi:[1,0,0]
	ds_read2_b64 v[126:129], v101 offset0:36 offset1:45
	v_mov_b32_e32 v155, v157
	s_waitcnt lgkmcnt(0)
	v_pk_mul_f32 v[130:131], v[128:129], v[40:41] op_sel:[0,1]
	s_nop 0
	v_pk_fma_f32 v[158:159], v[128:129], v[40:41], v[130:131] op_sel:[0,0,1] op_sel_hi:[1,1,0] neg_lo:[0,0,1] neg_hi:[0,0,1]
	v_pk_fma_f32 v[128:129], v[128:129], v[40:41], v[130:131] op_sel:[0,0,1] op_sel_hi:[1,0,0]
	s_nop 0
	v_mov_b32_e32 v159, v129
	ds_read2_b64 v[128:131], v101 offset1:9
	s_waitcnt lgkmcnt(0)
	v_pk_add_f32 v[134:135], v[128:129], v[158:159]
	s_nop 0
	v_pk_add_f32 v[160:161], v[134:135], v[132:133]
	v_pk_add_f32 v[134:135], v[158:159], v[132:133]
	v_pk_add_f32 v[132:133], v[158:159], v[132:133] neg_lo:[0,1] neg_hi:[0,1]
	v_pk_fma_f32 v[128:129], v[134:135], 0.5, v[128:129] op_sel_hi:[1,0,1] neg_lo:[1,0,0] neg_hi:[1,0,0]
	v_pk_mul_f32 v[132:133], v[132:133], s[2:3] op_sel_hi:[1,0]
	s_nop 0
	v_pk_add_f32 v[158:159], v[128:129], v[132:133] op_sel:[0,1] op_sel_hi:[1,0]
	v_pk_add_f32 v[128:129], v[128:129], v[132:133] op_sel:[0,1] op_sel_hi:[1,0] neg_lo:[0,1] neg_hi:[0,1]
	ds_read2_b64 v[132:135], v101 offset0:18 offset1:27
	v_mov_b32_e32 v163, v129
	v_mov_b32_e32 v129, v159
	ds_write_b64 v101, v[128:129] offset:720
	v_pk_add_f32 v[128:129], v[130:131], v[138:139]
	v_mov_b32_e32 v162, v158
	v_pk_add_f32 v[128:129], v[128:129], v[136:137]
	ds_write_b64 v101, v[162:163] offset:360
	ds_read_b64 v[158:159], v101 offset:1008
	ds_write2_b64 v101, v[160:161], v[128:129] offset1:9
	v_pk_add_f32 v[128:129], v[138:139], v[136:137]
	s_waitcnt lgkmcnt(4)
	v_pk_add_f32 v[124:125], v[134:135], v[152:153]
	v_pk_fma_f32 v[128:129], v[128:129], 0.5, v[130:131] op_sel_hi:[1,0,1] neg_lo:[1,0,0] neg_hi:[1,0,0]
	v_pk_add_f32 v[130:131], v[138:139], v[136:137] neg_lo:[0,1] neg_hi:[0,1]
	v_pk_add_f32 v[124:125], v[124:125], v[148:149]
	v_pk_mul_f32 v[130:131], v[130:131], s[2:3] op_sel_hi:[1,0]
	s_nop 0
	v_pk_add_f32 v[136:137], v[128:129], v[130:131] op_sel:[0,1] op_sel_hi:[1,0]
	v_pk_add_f32 v[128:129], v[128:129], v[130:131] op_sel:[0,1] op_sel_hi:[1,0] neg_lo:[0,1] neg_hi:[0,1]
	v_mov_b32_e32 v130, v136
	v_mov_b32_e32 v131, v129
	;; [unrolled: 1-line block ×3, first 2 shown]
	ds_write_b64 v101, v[128:129] offset:792
	v_pk_add_f32 v[128:129], v[140:141], v[144:145]
	v_pk_add_f32 v[136:137], v[140:141], v[144:145] neg_lo:[0,1] neg_hi:[0,1]
	v_pk_fma_f32 v[128:129], v[128:129], 0.5, v[132:133] op_sel_hi:[1,0,1] neg_lo:[1,0,0] neg_hi:[1,0,0]
	v_pk_mul_f32 v[136:137], v[136:137], s[2:3] op_sel_hi:[1,0]
	s_nop 0
	v_pk_add_f32 v[138:139], v[128:129], v[136:137] op_sel:[0,1] op_sel_hi:[1,0]
	v_pk_add_f32 v[128:129], v[128:129], v[136:137] op_sel:[0,1] op_sel_hi:[1,0] neg_lo:[0,1] neg_hi:[0,1]
	v_mov_b32_e32 v136, v138
	v_mov_b32_e32 v137, v129
	ds_write2_b64 v101, v[130:131], v[136:137] offset0:54 offset1:63
	v_pk_add_f32 v[130:131], v[132:133], v[140:141]
	v_mov_b32_e32 v129, v139
	v_pk_add_f32 v[130:131], v[130:131], v[144:145]
	ds_write2_b64 v101, v[130:131], v[124:125] offset0:18 offset1:27
	v_pk_add_f32 v[124:125], v[152:153], v[148:149]
	v_pk_add_f32 v[130:131], v[152:153], v[148:149] neg_lo:[0,1] neg_hi:[0,1]
	v_pk_fma_f32 v[124:125], v[124:125], 0.5, v[134:135] op_sel_hi:[1,0,1] neg_lo:[1,0,0] neg_hi:[1,0,0]
	v_pk_mul_f32 v[130:131], v[130:131], s[2:3] op_sel_hi:[1,0]
	s_nop 0
	v_pk_add_f32 v[132:133], v[124:125], v[130:131] op_sel:[0,1] op_sel_hi:[1,0]
	v_pk_add_f32 v[124:125], v[124:125], v[130:131] op_sel:[0,1] op_sel_hi:[1,0] neg_lo:[0,1] neg_hi:[0,1]
	v_mov_b32_e32 v130, v132
	v_mov_b32_e32 v131, v125
	;; [unrolled: 1-line block ×3, first 2 shown]
	ds_write2_b64 v101, v[128:129], v[124:125] offset0:108 offset1:117
	v_mov_b32_e32 v124, v59
	s_waitcnt lgkmcnt(5)
	v_pk_mul_f32 v[128:129], v[158:159], v[124:125] op_sel_hi:[1,0]
	s_nop 0
	v_pk_fma_f32 v[134:135], v[158:159], v[58:59], v[128:129] op_sel:[0,0,1] op_sel_hi:[1,1,0] neg_lo:[0,0,1] neg_hi:[0,0,1]
	v_pk_fma_f32 v[128:129], v[158:159], v[58:59], v[128:129] op_sel:[0,0,1] op_sel_hi:[1,0,0]
	s_nop 0
	v_mov_b32_e32 v135, v129
	v_pk_add_f32 v[128:129], v[154:155], v[134:135]
	v_pk_add_f32 v[132:133], v[154:155], v[134:135] neg_lo:[0,1] neg_hi:[0,1]
	v_pk_fma_f32 v[128:129], v[128:129], 0.5, v[126:127] op_sel_hi:[1,0,1] neg_lo:[1,0,0] neg_hi:[1,0,0]
	v_pk_mul_f32 v[132:133], v[132:133], s[2:3] op_sel_hi:[1,0]
	v_pk_add_f32 v[126:127], v[126:127], v[154:155]
	v_pk_add_f32 v[136:137], v[128:129], v[132:133] op_sel:[0,1] op_sel_hi:[1,0]
	v_pk_add_f32 v[128:129], v[128:129], v[132:133] op_sel:[0,1] op_sel_hi:[1,0] neg_lo:[0,1] neg_hi:[0,1]
	v_mov_b32_e32 v132, v136
	v_mov_b32_e32 v133, v129
	v_pk_add_f32 v[126:127], v[126:127], v[134:135]
	v_mov_b32_e32 v129, v137
	ds_write2_b64 v101, v[130:131], v[132:133] offset0:72 offset1:81
	ds_write_b64 v101, v[126:127] offset:288
	ds_write_b64 v101, v[128:129] offset:1008
	s_waitcnt lgkmcnt(0)
	s_barrier
	global_load_dwordx2 v[130:131], v103, s[8:9] offset:1080
	global_load_dwordx2 v[132:133], v103, s[16:17] offset:72
	;; [unrolled: 1-line block ×4, first 2 shown]
	ds_read2_b64 v[126:129], v101 offset1:9
	global_load_dwordx2 v[138:139], v103, s[16:17] offset:1008
	s_waitcnt vmcnt(4) lgkmcnt(0)
	v_mul_f32_e32 v43, v127, v131
	v_fma_f32 v140, v126, v130, -v43
	v_mul_f32_e32 v141, v126, v131
	s_waitcnt vmcnt(3)
	v_mul_f32_e32 v43, v129, v133
	v_mul_f32_e32 v145, v128, v133
	v_fmac_f32_e32 v141, v127, v130
	global_load_dwordx2 v[130:131], v103, s[16:17] offset:288
	global_load_dwordx2 v[142:143], v103, s[16:17] offset:144
	v_fma_f32 v144, v128, v132, -v43
	v_fmac_f32_e32 v145, v129, v132
	ds_read2_b64 v[126:129], v101 offset0:54 offset1:63
	global_load_dwordx2 v[132:133], v103, s[16:17] offset:576
	global_load_dwordx2 v[146:147], v103, s[16:17] offset:360
	s_waitcnt vmcnt(6) lgkmcnt(0)
	v_mul_f32_e32 v43, v127, v135
	v_fma_f32 v148, v126, v134, -v43
	v_mul_f32_e32 v149, v126, v135
	s_waitcnt vmcnt(5)
	v_mul_f32_e32 v43, v129, v137
	v_mul_f32_e32 v135, v128, v137
	v_fmac_f32_e32 v149, v127, v134
	v_fma_f32 v134, v128, v136, -v43
	v_fmac_f32_e32 v135, v129, v136
	global_load_dwordx2 v[136:137], v103, s[16:17] offset:864
	global_load_dwordx2 v[150:151], v103, s[16:17] offset:792
	ds_read2_b64 v[126:129], v101 offset0:108 offset1:117
	global_load_dwordx2 v[154:155], v103, s[16:17] offset:216
	s_waitcnt vmcnt(2) lgkmcnt(0)
	v_mul_f32_e32 v43, v127, v137
	v_mul_f32_e32 v153, v126, v137
	v_fma_f32 v152, v126, v136, -v43
	v_fmac_f32_e32 v153, v127, v136
	global_load_dwordx2 v[126:127], v103, s[16:17] offset:936
	s_waitcnt vmcnt(0)
	v_mul_f32_e32 v43, v129, v127
	v_mul_f32_e32 v137, v128, v127
	v_fma_f32 v136, v128, v126, -v43
	v_fmac_f32_e32 v137, v129, v126
	ds_read2_b64 v[126:129], v101 offset0:18 offset1:27
	s_waitcnt lgkmcnt(0)
	v_mul_f32_e32 v43, v129, v155
	v_fma_f32 v156, v128, v154, -v43
	v_mul_f32_e32 v157, v128, v155
	v_mul_f32_e32 v43, v127, v143
	;; [unrolled: 1-line block ×3, first 2 shown]
	v_fmac_f32_e32 v157, v129, v154
	v_fma_f32 v154, v126, v142, -v43
	v_fmac_f32_e32 v155, v127, v142
	ds_read2_b64 v[126:129], v101 offset0:36 offset1:45
	s_waitcnt lgkmcnt(0)
	v_mul_f32_e32 v43, v127, v131
	v_fma_f32 v142, v126, v130, -v43
	v_mul_f32_e32 v143, v126, v131
	v_mul_f32_e32 v43, v129, v147
	;; [unrolled: 1-line block ×3, first 2 shown]
	v_fmac_f32_e32 v143, v127, v130
	v_fma_f32 v130, v128, v146, -v43
	v_fmac_f32_e32 v131, v129, v146
	global_load_dwordx2 v[146:147], v103, s[16:17] offset:648
	global_load_dwordx2 v[158:159], v103, s[16:17] offset:720
	ds_read2_b64 v[126:129], v101 offset0:72 offset1:81
	s_waitcnt vmcnt(1) lgkmcnt(0)
	v_mul_f32_e32 v43, v129, v147
	v_fma_f32 v160, v128, v146, -v43
	v_mul_f32_e32 v161, v128, v147
	v_mul_f32_e32 v43, v127, v133
	;; [unrolled: 1-line block ×3, first 2 shown]
	v_fmac_f32_e32 v161, v129, v146
	v_fma_f32 v146, v126, v132, -v43
	v_fmac_f32_e32 v147, v127, v132
	ds_read2_b64 v[126:129], v101 offset0:90 offset1:99
	ds_write2_b64 v101, v[140:141], v[144:145] offset1:9
	ds_write2_b64 v101, v[148:149], v[134:135] offset0:54 offset1:63
	ds_write2_b64 v101, v[152:153], v[136:137] offset0:108 offset1:117
	s_waitcnt vmcnt(0) lgkmcnt(3)
	v_mul_f32_e32 v43, v127, v159
	v_mul_f32_e32 v133, v126, v159
	v_fma_f32 v132, v126, v158, -v43
	v_fmac_f32_e32 v133, v127, v158
	v_mul_f32_e32 v43, v129, v151
	v_mul_f32_e32 v127, v128, v151
	v_fma_f32 v126, v128, v150, -v43
	v_fmac_f32_e32 v127, v129, v150
	ds_read_b64 v[128:129], v101 offset:1008
	ds_write2_b64 v101, v[154:155], v[156:157] offset0:18 offset1:27
	ds_write2_b64 v101, v[142:143], v[130:131] offset0:36 offset1:45
	;; [unrolled: 1-line block ×4, first 2 shown]
	s_waitcnt lgkmcnt(4)
	v_mul_f32_e32 v43, v129, v139
	v_mul_f32_e32 v127, v128, v139
	v_fma_f32 v126, v128, v138, -v43
	v_fmac_f32_e32 v127, v129, v138
	ds_write_b64 v101, v[126:127] offset:1008
	s_waitcnt lgkmcnt(0)
	s_barrier
	ds_read2_b64 v[126:129], v101 offset0:54 offset1:63
	ds_read2_b64 v[130:133], v101 offset0:18 offset1:27
	;; [unrolled: 1-line block ×4, first 2 shown]
	ds_read2_b64 v[142:145], v101 offset1:9
	s_waitcnt lgkmcnt(3)
	v_pk_add_f32 v[146:147], v[132:133], v[126:127] neg_lo:[0,1] neg_hi:[0,1]
	s_waitcnt lgkmcnt(2)
	v_pk_add_f32 v[156:157], v[132:133], v[134:135] neg_lo:[0,1] neg_hi:[0,1]
	;; [unrolled: 2-line block ×3, first 2 shown]
	v_pk_add_f32 v[158:159], v[126:127], v[140:141] neg_lo:[0,1] neg_hi:[0,1]
	v_pk_add_f32 v[154:155], v[146:147], v[148:149]
	v_pk_add_f32 v[146:147], v[126:127], v[140:141]
	v_pk_mul_f32 v[148:149], v[156:157], s[12:13] op_sel_hi:[1,0]
	s_waitcnt lgkmcnt(0)
	v_pk_fma_f32 v[146:147], v[146:147], 0.5, v[142:143] op_sel_hi:[1,0,1] neg_lo:[1,0,0] neg_hi:[1,0,0]
	s_nop 0
	v_pk_add_f32 v[150:151], v[146:147], v[148:149] op_sel:[0,1] op_sel_hi:[1,0] neg_lo:[0,1] neg_hi:[0,1]
	v_pk_add_f32 v[146:147], v[146:147], v[148:149] op_sel:[0,1] op_sel_hi:[1,0]
	v_pk_mul_f32 v[148:149], v[158:159], s[18:19] op_sel_hi:[1,0]
	s_nop 0
	v_pk_add_f32 v[160:161], v[146:147], v[148:149] op_sel:[0,1] op_sel_hi:[1,0]
	v_pk_add_f32 v[146:147], v[142:143], v[132:133]
	v_pk_add_f32 v[162:163], v[150:151], v[148:149] op_sel:[0,1] op_sel_hi:[1,0] neg_lo:[0,1] neg_hi:[0,1]
	v_pk_add_f32 v[146:147], v[146:147], v[126:127]
	v_pk_add_f32 v[126:127], v[126:127], v[132:133] neg_lo:[0,1] neg_hi:[0,1]
	v_pk_add_f32 v[146:147], v[146:147], v[140:141]
	v_pk_add_f32 v[132:133], v[132:133], v[134:135]
	;; [unrolled: 1-line block ×3, first 2 shown]
	ds_read_b64 v[166:167], v101 offset:1008
	ds_read2_b64 v[146:149], v101 offset0:36 offset1:45
	ds_read2_b64 v[150:153], v101 offset0:90 offset1:99
	v_pk_add_f32 v[140:141], v[140:141], v[134:135] neg_lo:[0,1] neg_hi:[0,1]
	v_pk_fma_f32 v[132:133], v[132:133], 0.5, v[142:143] op_sel_hi:[1,0,1] neg_lo:[1,0,0] neg_hi:[1,0,0]
	v_pk_mul_f32 v[134:135], v[158:159], s[12:13] op_sel_hi:[1,0]
	v_pk_add_f32 v[126:127], v[126:127], v[140:141]
	v_pk_add_f32 v[140:141], v[132:133], v[134:135] op_sel:[0,1] op_sel_hi:[1,0]
	v_pk_add_f32 v[132:133], v[132:133], v[134:135] op_sel:[0,1] op_sel_hi:[1,0] neg_lo:[0,1] neg_hi:[0,1]
	v_pk_mul_f32 v[134:135], v[156:157], s[18:19] op_sel_hi:[1,0]
	v_mov_b32_e32 v169, v161
	v_pk_add_f32 v[132:133], v[132:133], v[134:135] op_sel:[0,1] op_sel_hi:[1,0]
	v_pk_add_f32 v[134:135], v[140:141], v[134:135] op_sel:[0,1] op_sel_hi:[1,0] neg_lo:[0,1] neg_hi:[0,1]
	v_mov_b32_e32 v141, v133
	v_mov_b32_e32 v140, v134
	;; [unrolled: 1-line block ×3, first 2 shown]
	v_pk_fma_f32 v[134:135], v[126:127], s[14:15], v[140:141] op_sel_hi:[1,0,1]
	v_pk_fma_f32 v[126:127], v[126:127], s[14:15], v[132:133] op_sel_hi:[1,0,1]
	v_mov_b32_e32 v161, v163
	s_waitcnt lgkmcnt(0)
	s_barrier
	ds_write2_b64 v105, v[134:135], v[126:127] offset0:2 offset1:3
	v_pk_fma_f32 v[126:127], v[154:155], s[14:15], v[160:161] op_sel_hi:[1,0,1]
	v_pk_add_f32 v[140:141], v[146:147], v[128:129] neg_lo:[0,1] neg_hi:[0,1]
	v_pk_add_f32 v[142:143], v[136:137], v[150:151] neg_lo:[0,1] neg_hi:[0,1]
	ds_write_b64 v105, v[126:127] offset:32
	v_pk_add_f32 v[126:127], v[128:129], v[150:151]
	v_pk_add_f32 v[132:133], v[146:147], v[136:137]
	;; [unrolled: 1-line block ×3, first 2 shown]
	v_pk_add_f32 v[142:143], v[146:147], v[136:137] neg_lo:[0,1] neg_hi:[0,1]
	v_mov_b32_e32 v168, v162
	v_pk_fma_f32 v[126:127], v[126:127], 0.5, v[144:145] op_sel_hi:[1,0,1] neg_lo:[1,0,0] neg_hi:[1,0,0]
	v_pk_fma_f32 v[132:133], v[132:133], 0.5, v[144:145] op_sel_hi:[1,0,1] neg_lo:[1,0,0] neg_hi:[1,0,0]
	v_pk_add_f32 v[134:135], v[144:145], v[146:147]
	v_pk_mul_f32 v[144:145], v[142:143], s[12:13] op_sel_hi:[1,0]
	v_pk_fma_f32 v[168:169], v[154:155], s[14:15], v[168:169] op_sel_hi:[1,0,1]
	v_pk_add_f32 v[154:155], v[126:127], v[144:145] op_sel:[0,1] op_sel_hi:[1,0] neg_lo:[0,1] neg_hi:[0,1]
	v_pk_add_f32 v[126:127], v[126:127], v[144:145] op_sel:[0,1] op_sel_hi:[1,0]
	v_pk_add_f32 v[144:145], v[128:129], v[150:151] neg_lo:[0,1] neg_hi:[0,1]
	v_pk_add_f32 v[134:135], v[134:135], v[128:129]
	v_pk_mul_f32 v[156:157], v[144:145], s[18:19] op_sel_hi:[1,0]
	v_pk_add_f32 v[134:135], v[134:135], v[150:151]
	v_pk_add_f32 v[126:127], v[126:127], v[156:157] op_sel:[0,1] op_sel_hi:[1,0]
	v_pk_add_f32 v[154:155], v[154:155], v[156:157] op_sel:[0,1] op_sel_hi:[1,0] neg_lo:[0,1] neg_hi:[0,1]
	v_mov_b32_e32 v157, v127
	v_mov_b32_e32 v156, v154
	v_pk_add_f32 v[134:135], v[134:135], v[136:137]
	v_pk_fma_f32 v[156:157], v[140:141], s[14:15], v[156:157] op_sel_hi:[1,0,1]
	ds_write2_b64 v105, v[164:165], v[168:169] offset1:1
	ds_write2_b64 v109, v[134:135], v[156:157] offset1:1
	v_pk_add_f32 v[128:129], v[128:129], v[146:147] neg_lo:[0,1] neg_hi:[0,1]
	v_pk_add_f32 v[134:135], v[150:151], v[136:137] neg_lo:[0,1] neg_hi:[0,1]
	v_mov_b32_e32 v127, v155
	v_pk_add_f32 v[128:129], v[128:129], v[134:135]
	v_pk_mul_f32 v[134:135], v[144:145], s[12:13] op_sel_hi:[1,0]
	v_pk_fma_f32 v[126:127], v[140:141], s[14:15], v[126:127] op_sel_hi:[1,0,1]
	v_pk_add_f32 v[136:137], v[132:133], v[134:135] op_sel:[0,1] op_sel_hi:[1,0]
	v_pk_add_f32 v[132:133], v[132:133], v[134:135] op_sel:[0,1] op_sel_hi:[1,0] neg_lo:[0,1] neg_hi:[0,1]
	v_pk_mul_f32 v[134:135], v[142:143], s[18:19] op_sel_hi:[1,0]
	ds_write_b64 v109, v[126:127] offset:32
	v_pk_add_f32 v[132:133], v[132:133], v[134:135] op_sel:[0,1] op_sel_hi:[1,0]
	v_pk_add_f32 v[134:135], v[136:137], v[134:135] op_sel:[0,1] op_sel_hi:[1,0] neg_lo:[0,1] neg_hi:[0,1]
	v_mov_b32_e32 v137, v133
	v_mov_b32_e32 v136, v134
	;; [unrolled: 1-line block ×3, first 2 shown]
	v_pk_fma_f32 v[134:135], v[128:129], s[14:15], v[136:137] op_sel_hi:[1,0,1]
	v_pk_fma_f32 v[128:129], v[128:129], s[14:15], v[132:133] op_sel_hi:[1,0,1]
	ds_write2_b64 v109, v[134:135], v[128:129] offset0:2 offset1:3
	v_pk_add_f32 v[126:127], v[148:149], v[138:139] neg_lo:[0,1] neg_hi:[0,1]
	v_pk_add_f32 v[128:129], v[166:167], v[152:153] neg_lo:[0,1] neg_hi:[0,1]
	;; [unrolled: 1-line block ×3, first 2 shown]
	v_pk_add_f32 v[126:127], v[126:127], v[128:129]
	v_pk_add_f32 v[128:129], v[138:139], v[152:153]
	v_pk_mul_f32 v[134:135], v[132:133], s[12:13] op_sel_hi:[1,0]
	v_pk_fma_f32 v[128:129], v[128:129], 0.5, v[130:131] op_sel_hi:[1,0,1] neg_lo:[1,0,0] neg_hi:[1,0,0]
	v_pk_mul_f32 v[132:133], v[132:133], s[18:19] op_sel_hi:[1,0]
	v_pk_add_f32 v[136:137], v[128:129], v[134:135] op_sel:[0,1] op_sel_hi:[1,0] neg_lo:[0,1] neg_hi:[0,1]
	v_pk_add_f32 v[128:129], v[128:129], v[134:135] op_sel:[0,1] op_sel_hi:[1,0]
	v_pk_add_f32 v[134:135], v[138:139], v[152:153] neg_lo:[0,1] neg_hi:[0,1]
	s_nop 0
	v_pk_mul_f32 v[140:141], v[134:135], s[18:19] op_sel_hi:[1,0]
	v_pk_mul_f32 v[134:135], v[134:135], s[12:13] op_sel_hi:[1,0]
	v_pk_add_f32 v[128:129], v[128:129], v[140:141] op_sel:[0,1] op_sel_hi:[1,0]
	v_pk_add_f32 v[136:137], v[136:137], v[140:141] op_sel:[0,1] op_sel_hi:[1,0] neg_lo:[0,1] neg_hi:[0,1]
	v_pk_add_f32 v[140:141], v[130:131], v[148:149]
	v_mov_b32_e32 v142, v136
	v_pk_add_f32 v[140:141], v[140:141], v[138:139]
	v_mov_b32_e32 v143, v129
	v_pk_add_f32 v[140:141], v[140:141], v[152:153]
	v_pk_fma_f32 v[142:143], v[126:127], s[14:15], v[142:143] op_sel_hi:[1,0,1]
	v_pk_add_f32 v[140:141], v[140:141], v[166:167]
	ds_write2_b64 v107, v[140:141], v[142:143] offset1:1
	v_pk_add_f32 v[140:141], v[148:149], v[166:167]
	v_pk_add_f32 v[138:139], v[138:139], v[148:149] neg_lo:[0,1] neg_hi:[0,1]
	v_pk_fma_f32 v[130:131], v[140:141], 0.5, v[130:131] op_sel_hi:[1,0,1] neg_lo:[1,0,0] neg_hi:[1,0,0]
	v_pk_add_f32 v[140:141], v[152:153], v[166:167] neg_lo:[0,1] neg_hi:[0,1]
	v_mov_b32_e32 v129, v137
	v_pk_add_f32 v[138:139], v[138:139], v[140:141]
	v_pk_add_f32 v[140:141], v[130:131], v[134:135] op_sel:[0,1] op_sel_hi:[1,0]
	v_pk_add_f32 v[130:131], v[130:131], v[134:135] op_sel:[0,1] op_sel_hi:[1,0] neg_lo:[0,1] neg_hi:[0,1]
	v_pk_fma_f32 v[126:127], v[126:127], s[14:15], v[128:129] op_sel_hi:[1,0,1]
	v_pk_add_f32 v[130:131], v[130:131], v[132:133] op_sel:[0,1] op_sel_hi:[1,0]
	v_pk_add_f32 v[132:133], v[140:141], v[132:133] op_sel:[0,1] op_sel_hi:[1,0] neg_lo:[0,1] neg_hi:[0,1]
	v_mov_b32_e32 v135, v131
	v_mov_b32_e32 v134, v132
	;; [unrolled: 1-line block ×3, first 2 shown]
	v_pk_fma_f32 v[132:133], v[138:139], s[14:15], v[134:135] op_sel_hi:[1,0,1]
	v_pk_fma_f32 v[130:131], v[138:139], s[14:15], v[130:131] op_sel_hi:[1,0,1]
	ds_write2_b64 v107, v[132:133], v[130:131] offset0:2 offset1:3
	ds_write_b64 v107, v[126:127] offset:32
	s_waitcnt lgkmcnt(0)
	s_barrier
	ds_read_b64 v[130:131], v101 offset:1008
	ds_read2_b64 v[126:129], v101 offset0:72 offset1:81
	s_waitcnt lgkmcnt(1)
	v_pk_mul_f32 v[112:113], v[112:113], v[130:131] op_sel_hi:[0,1]
	v_pk_fma_f32 v[134:135], v[10:11], v[130:131], v[112:113] op_sel:[0,0,1] op_sel_hi:[1,1,0]
	v_pk_fma_f32 v[112:113], v[10:11], v[130:131], v[112:113] op_sel:[0,0,1] op_sel_hi:[0,1,0] neg_lo:[0,0,1] neg_hi:[0,0,1]
	ds_read2_b64 v[130:133], v101 offset0:108 offset1:117
	s_waitcnt lgkmcnt(1)
	v_pk_mul_f32 v[136:137], v[8:9], v[128:129] op_sel:[1,0]
	v_mov_b32_e32 v135, v113
	v_pk_fma_f32 v[138:139], v[8:9], v[128:129], v[136:137] op_sel:[0,0,1] op_sel_hi:[1,1,0]
	v_pk_fma_f32 v[8:9], v[8:9], v[128:129], v[136:137] op_sel:[0,0,1] op_sel_hi:[0,1,0] neg_lo:[0,0,1] neg_hi:[0,0,1]
	v_pk_mul_f32 v[128:129], v[4:5], v[126:127] op_sel:[1,0]
	s_waitcnt lgkmcnt(0)
	v_pk_mul_f32 v[102:103], v[102:103], v[132:133] op_sel_hi:[0,1]
	v_pk_fma_f32 v[136:137], v[4:5], v[126:127], v[128:129] op_sel:[0,0,1] op_sel_hi:[1,1,0]
	v_pk_fma_f32 v[4:5], v[4:5], v[126:127], v[128:129] op_sel:[0,0,1] op_sel_hi:[0,1,0] neg_lo:[0,0,1] neg_hi:[0,0,1]
	ds_read2_b64 v[126:129], v101 offset0:54 offset1:63
	v_pk_fma_f32 v[140:141], v[6:7], v[132:133], v[102:103] op_sel:[0,0,1] op_sel_hi:[1,1,0]
	v_pk_fma_f32 v[102:103], v[6:7], v[132:133], v[102:103] op_sel:[0,0,1] op_sel_hi:[0,1,0] neg_lo:[0,0,1] neg_hi:[0,0,1]
	v_pk_mul_f32 v[132:133], v[100:101], v[130:131] op_sel_hi:[0,1]
	v_pk_fma_f32 v[142:143], v[2:3], v[130:131], v[132:133] op_sel:[0,0,1] op_sel_hi:[1,1,0]
	v_pk_fma_f32 v[144:145], v[2:3], v[130:131], v[132:133] op_sel:[0,0,1] op_sel_hi:[0,1,0] neg_lo:[0,0,1] neg_hi:[0,0,1]
	ds_read2_b64 v[130:133], v101 offset0:90 offset1:99
	s_waitcnt lgkmcnt(1)
	v_pk_mul_f32 v[146:147], v[0:1], v[128:129] op_sel:[1,0]
	v_mov_b32_e32 v143, v145
	v_pk_fma_f32 v[148:149], v[0:1], v[128:129], v[146:147] op_sel:[0,0,1] op_sel_hi:[1,1,0]
	v_pk_fma_f32 v[0:1], v[0:1], v[128:129], v[146:147] op_sel:[0,0,1] op_sel_hi:[0,1,0] neg_lo:[0,0,1] neg_hi:[0,0,1]
	v_pk_mul_f32 v[128:129], v[12:13], v[126:127] op_sel:[1,0]
	s_waitcnt lgkmcnt(0)
	v_pk_mul_f32 v[150:151], v[98:99], v[132:133] op_sel_hi:[0,1]
	v_pk_fma_f32 v[146:147], v[12:13], v[126:127], v[128:129] op_sel:[0,0,1] op_sel_hi:[1,1,0]
	v_pk_fma_f32 v[12:13], v[12:13], v[126:127], v[128:129] op_sel:[0,0,1] op_sel_hi:[0,1,0] neg_lo:[0,0,1] neg_hi:[0,0,1]
	ds_read2_b64 v[126:129], v101 offset0:36 offset1:45
	v_pk_fma_f32 v[152:153], v[14:15], v[132:133], v[150:151] op_sel:[0,0,1] op_sel_hi:[1,1,0]
	v_pk_fma_f32 v[150:151], v[14:15], v[132:133], v[150:151] op_sel:[0,0,1] op_sel_hi:[0,1,0] neg_lo:[0,0,1] neg_hi:[0,0,1]
	v_pk_mul_f32 v[132:133], v[96:97], v[130:131] op_sel_hi:[0,1]
	v_pk_fma_f32 v[154:155], v[18:19], v[130:131], v[132:133] op_sel:[0,0,1] op_sel_hi:[1,1,0]
	v_pk_fma_f32 v[156:157], v[18:19], v[130:131], v[132:133] op_sel:[0,0,1] op_sel_hi:[0,1,0] neg_lo:[0,0,1] neg_hi:[0,0,1]
	ds_read2_b64 v[130:133], v101 offset1:9
	s_waitcnt lgkmcnt(1)
	v_pk_mul_f32 v[158:159], v[16:17], v[128:129] op_sel:[1,0]
	v_mov_b32_e32 v155, v157
	v_pk_fma_f32 v[160:161], v[16:17], v[128:129], v[158:159] op_sel:[0,0,1] op_sel_hi:[1,1,0]
	v_pk_fma_f32 v[16:17], v[16:17], v[128:129], v[158:159] op_sel:[0,0,1] op_sel_hi:[0,1,0] neg_lo:[0,0,1] neg_hi:[0,0,1]
	v_mov_b32_e32 v161, v17
	s_waitcnt lgkmcnt(0)
	v_pk_add_f32 v[16:17], v[130:131], v[160:161]
	v_pk_add_f32 v[128:129], v[160:161], v[154:155]
	;; [unrolled: 1-line block ×3, first 2 shown]
	v_pk_add_f32 v[154:155], v[160:161], v[154:155] neg_lo:[0,1] neg_hi:[0,1]
	v_pk_fma_f32 v[128:129], v[128:129], 0.5, v[130:131] op_sel_hi:[1,0,1] neg_lo:[1,0,0] neg_hi:[1,0,0]
	v_pk_mul_f32 v[130:131], v[154:155], s[2:3] op_sel_hi:[1,0]
	v_mov_b32_e32 v147, v13
	v_pk_add_f32 v[154:155], v[128:129], v[130:131] op_sel:[0,1] op_sel_hi:[1,0] neg_lo:[0,1] neg_hi:[0,1]
	v_pk_add_f32 v[156:157], v[128:129], v[130:131] op_sel:[0,1] op_sel_hi:[1,0]
	v_mov_b32_e32 v158, v154
	v_mov_b32_e32 v159, v157
	;; [unrolled: 1-line block ×4, first 2 shown]
	ds_read2_b64 v[128:131], v101 offset0:18 offset1:27
	s_waitcnt lgkmcnt(0)
	s_barrier
	ds_write2_b64 v3, v[16:17], v[158:159] offset1:5
	ds_write_b64 v3, v[156:157] offset:80
	v_pk_add_f32 v[2:3], v[146:147], v[152:153]
	v_pk_add_f32 v[16:17], v[146:147], v[152:153] neg_lo:[0,1] neg_hi:[0,1]
	v_pk_fma_f32 v[2:3], v[2:3], 0.5, v[132:133] op_sel_hi:[1,0,1] neg_lo:[1,0,0] neg_hi:[1,0,0]
	v_pk_mul_f32 v[16:17], v[16:17], s[2:3] op_sel_hi:[1,0]
	v_pk_add_f32 v[12:13], v[132:133], v[146:147]
	v_pk_add_f32 v[132:133], v[2:3], v[16:17] op_sel:[0,1] op_sel_hi:[1,0] neg_lo:[0,1] neg_hi:[0,1]
	v_pk_add_f32 v[2:3], v[2:3], v[16:17] op_sel:[0,1] op_sel_hi:[1,0]
	v_pk_add_f32 v[12:13], v[12:13], v[152:153]
	v_mov_b32_e32 v16, v132
	v_mov_b32_e32 v17, v3
	;; [unrolled: 1-line block ×4, first 2 shown]
	ds_write2_b64 v7, v[12:13], v[16:17] offset1:5
	ds_write_b64 v7, v[2:3] offset:80
	v_pk_add_f32 v[2:3], v[148:149], v[142:143]
	v_pk_add_f32 v[6:7], v[148:149], v[142:143] neg_lo:[0,1] neg_hi:[0,1]
	v_pk_fma_f32 v[2:3], v[2:3], 0.5, v[128:129] op_sel_hi:[1,0,1] neg_lo:[1,0,0] neg_hi:[1,0,0]
	v_pk_mul_f32 v[6:7], v[6:7], s[2:3] op_sel_hi:[1,0]
	v_pk_add_f32 v[0:1], v[128:129], v[148:149]
	v_pk_add_f32 v[12:13], v[2:3], v[6:7] op_sel:[0,1] op_sel_hi:[1,0] neg_lo:[0,1] neg_hi:[0,1]
	v_pk_add_f32 v[2:3], v[2:3], v[6:7] op_sel:[0,1] op_sel_hi:[1,0]
	v_pk_add_f32 v[0:1], v[0:1], v[142:143]
	v_mov_b32_e32 v6, v12
	v_mov_b32_e32 v7, v3
	;; [unrolled: 1-line block ×4, first 2 shown]
	ds_write2_b64 v15, v[0:1], v[6:7] offset1:5
	v_pk_add_f32 v[0:1], v[136:137], v[140:141]
	v_pk_add_f32 v[4:5], v[136:137], v[140:141] neg_lo:[0,1] neg_hi:[0,1]
	v_mov_b32_e32 v3, v13
	v_pk_fma_f32 v[0:1], v[0:1], 0.5, v[130:131] op_sel_hi:[1,0,1] neg_lo:[1,0,0] neg_hi:[1,0,0]
	v_pk_mul_f32 v[4:5], v[4:5], s[2:3] op_sel_hi:[1,0]
	ds_write_b64 v15, v[2:3] offset:80
	v_pk_add_f32 v[2:3], v[130:131], v[136:137]
	v_pk_add_f32 v[6:7], v[0:1], v[4:5] op_sel:[0,1] op_sel_hi:[1,0] neg_lo:[0,1] neg_hi:[0,1]
	v_pk_add_f32 v[0:1], v[0:1], v[4:5] op_sel:[0,1] op_sel_hi:[1,0]
	v_pk_add_f32 v[2:3], v[2:3], v[140:141]
	v_mov_b32_e32 v4, v6
	v_mov_b32_e32 v5, v1
	;; [unrolled: 1-line block ×4, first 2 shown]
	ds_write2_b64 v19, v[2:3], v[4:5] offset1:5
	ds_write_b64 v19, v[0:1] offset:80
	v_pk_add_f32 v[0:1], v[138:139], v[134:135]
	v_pk_add_f32 v[4:5], v[138:139], v[134:135] neg_lo:[0,1] neg_hi:[0,1]
	v_pk_fma_f32 v[0:1], v[0:1], 0.5, v[126:127] op_sel_hi:[1,0,1] neg_lo:[1,0,0] neg_hi:[1,0,0]
	v_pk_mul_f32 v[4:5], v[4:5], s[2:3] op_sel_hi:[1,0]
	v_pk_add_f32 v[2:3], v[126:127], v[138:139]
	v_pk_add_f32 v[6:7], v[0:1], v[4:5] op_sel:[0,1] op_sel_hi:[1,0] neg_lo:[0,1] neg_hi:[0,1]
	v_pk_add_f32 v[0:1], v[0:1], v[4:5] op_sel:[0,1] op_sel_hi:[1,0]
	v_pk_add_f32 v[2:3], v[2:3], v[134:135]
	v_mov_b32_e32 v4, v6
	v_mov_b32_e32 v5, v1
	;; [unrolled: 1-line block ×3, first 2 shown]
	ds_write2_b64 v11, v[2:3], v[4:5] offset1:5
	ds_write_b64 v11, v[0:1] offset:80
	s_waitcnt lgkmcnt(0)
	s_barrier
	ds_read_b64 v[4:5], v101 offset:1008
	ds_read2_b64 v[0:3], v101 offset0:72 offset1:81
	s_waitcnt lgkmcnt(1)
	v_pk_mul_f32 v[6:7], v[122:123], v[4:5] op_sel_hi:[0,1]
	v_pk_fma_f32 v[8:9], v[22:23], v[4:5], v[6:7] op_sel:[0,0,1] op_sel_hi:[1,1,0]
	v_pk_fma_f32 v[10:11], v[22:23], v[4:5], v[6:7] op_sel:[0,0,1] op_sel_hi:[0,1,0] neg_lo:[0,0,1] neg_hi:[0,0,1]
	ds_read2_b64 v[4:7], v101 offset0:108 offset1:117
	s_waitcnt lgkmcnt(1)
	v_pk_mul_f32 v[12:13], v[20:21], v[2:3] op_sel:[1,0]
	v_mov_b32_e32 v9, v11
	v_pk_fma_f32 v[14:15], v[20:21], v[2:3], v[12:13] op_sel:[0,0,1] op_sel_hi:[1,1,0]
	v_pk_fma_f32 v[12:13], v[20:21], v[2:3], v[12:13] op_sel:[0,0,1] op_sel_hi:[0,1,0] neg_lo:[0,0,1] neg_hi:[0,0,1]
	v_pk_mul_f32 v[2:3], v[24:25], v[0:1] op_sel:[1,0]
	s_waitcnt lgkmcnt(0)
	v_pk_mul_f32 v[20:21], v[110:111], v[6:7] op_sel_hi:[0,1]
	v_pk_fma_f32 v[16:17], v[24:25], v[0:1], v[2:3] op_sel:[0,0,1] op_sel_hi:[1,1,0]
	v_pk_fma_f32 v[18:19], v[24:25], v[0:1], v[2:3] op_sel:[0,0,1] op_sel_hi:[0,1,0] neg_lo:[0,0,1] neg_hi:[0,0,1]
	ds_read2_b64 v[0:3], v101 offset0:54 offset1:63
	v_pk_fma_f32 v[24:25], v[26:27], v[6:7], v[20:21] op_sel:[0,0,1] op_sel_hi:[1,1,0]
	v_pk_fma_f32 v[20:21], v[26:27], v[6:7], v[20:21] op_sel:[0,0,1] op_sel_hi:[0,1,0] neg_lo:[0,0,1] neg_hi:[0,0,1]
	v_pk_mul_f32 v[6:7], v[106:107], v[4:5] op_sel_hi:[0,1]
	v_pk_fma_f32 v[102:103], v[30:31], v[4:5], v[6:7] op_sel:[0,0,1] op_sel_hi:[1,1,0]
	v_pk_fma_f32 v[106:107], v[30:31], v[4:5], v[6:7] op_sel:[0,0,1] op_sel_hi:[0,1,0] neg_lo:[0,0,1] neg_hi:[0,0,1]
	ds_read2_b64 v[4:7], v101 offset0:90 offset1:99
	s_waitcnt lgkmcnt(1)
	v_pk_mul_f32 v[110:111], v[28:29], v[2:3] op_sel:[1,0]
	v_mov_b32_e32 v103, v107
	v_pk_fma_f32 v[112:113], v[28:29], v[2:3], v[110:111] op_sel:[0,0,1] op_sel_hi:[1,1,0]
	v_pk_fma_f32 v[28:29], v[28:29], v[2:3], v[110:111] op_sel:[0,0,1] op_sel_hi:[0,1,0] neg_lo:[0,0,1] neg_hi:[0,0,1]
	v_pk_mul_f32 v[2:3], v[32:33], v[0:1] op_sel:[1,0]
	s_waitcnt lgkmcnt(0)
	v_pk_mul_f32 v[108:109], v[108:109], v[6:7] op_sel_hi:[0,1]
	v_pk_fma_f32 v[110:111], v[32:33], v[0:1], v[2:3] op_sel:[0,0,1] op_sel_hi:[1,1,0]
	v_pk_fma_f32 v[32:33], v[32:33], v[0:1], v[2:3] op_sel:[0,0,1] op_sel_hi:[0,1,0] neg_lo:[0,0,1] neg_hi:[0,0,1]
	ds_read2_b64 v[0:3], v101 offset0:36 offset1:45
	v_pk_fma_f32 v[122:123], v[34:35], v[6:7], v[108:109] op_sel:[0,0,1] op_sel_hi:[1,1,0]
	v_pk_fma_f32 v[34:35], v[34:35], v[6:7], v[108:109] op_sel:[0,0,1] op_sel_hi:[0,1,0] neg_lo:[0,0,1] neg_hi:[0,0,1]
	v_pk_mul_f32 v[6:7], v[104:105], v[4:5] op_sel_hi:[0,1]
	v_pk_fma_f32 v[104:105], v[38:39], v[4:5], v[6:7] op_sel:[0,0,1] op_sel_hi:[1,1,0]
	v_pk_fma_f32 v[38:39], v[38:39], v[4:5], v[6:7] op_sel:[0,0,1] op_sel_hi:[0,1,0] neg_lo:[0,0,1] neg_hi:[0,0,1]
	ds_read2_b64 v[4:7], v101 offset1:9
	s_waitcnt lgkmcnt(1)
	v_pk_mul_f32 v[108:109], v[36:37], v[2:3] op_sel:[1,0]
	v_mov_b32_e32 v105, v39
	v_pk_fma_f32 v[126:127], v[36:37], v[2:3], v[108:109] op_sel:[0,0,1] op_sel_hi:[1,1,0]
	v_pk_fma_f32 v[2:3], v[36:37], v[2:3], v[108:109] op_sel:[0,0,1] op_sel_hi:[0,1,0] neg_lo:[0,0,1] neg_hi:[0,0,1]
	v_mov_b32_e32 v127, v3
	s_waitcnt lgkmcnt(0)
	v_pk_add_f32 v[2:3], v[4:5], v[126:127]
	v_pk_add_f32 v[38:39], v[126:127], v[104:105] neg_lo:[0,1] neg_hi:[0,1]
	v_pk_add_f32 v[36:37], v[2:3], v[104:105]
	v_pk_add_f32 v[2:3], v[126:127], v[104:105]
	v_mov_b32_e32 v111, v33
	v_pk_fma_f32 v[2:3], v[2:3], 0.5, v[4:5] op_sel_hi:[1,0,1] neg_lo:[1,0,0] neg_hi:[1,0,0]
	v_pk_mul_f32 v[4:5], v[38:39], s[2:3] op_sel_hi:[1,0]
	v_mov_b32_e32 v123, v35
	v_pk_add_f32 v[38:39], v[2:3], v[4:5] op_sel:[0,1] op_sel_hi:[1,0]
	v_pk_add_f32 v[104:105], v[2:3], v[4:5] op_sel:[0,1] op_sel_hi:[1,0] neg_lo:[0,1] neg_hi:[0,1]
	ds_read2_b64 v[2:5], v101 offset0:18 offset1:27
	v_pk_add_f32 v[32:33], v[110:111], v[122:123]
	v_pk_add_f32 v[34:35], v[110:111], v[122:123] neg_lo:[0,1] neg_hi:[0,1]
	v_mov_b32_e32 v108, v104
	v_mov_b32_e32 v109, v39
	v_pk_fma_f32 v[32:33], v[32:33], 0.5, v[6:7] op_sel_hi:[1,0,1] neg_lo:[1,0,0] neg_hi:[1,0,0]
	v_pk_mul_f32 v[34:35], v[34:35], s[2:3] op_sel_hi:[1,0]
	s_waitcnt lgkmcnt(0)
	s_barrier
	ds_write2_b64 v101, v[36:37], v[108:109] offset1:15
	v_pk_add_f32 v[6:7], v[6:7], v[110:111]
	v_pk_add_f32 v[36:37], v[32:33], v[34:35] op_sel:[0,1] op_sel_hi:[1,0] neg_lo:[0,1] neg_hi:[0,1]
	v_pk_add_f32 v[32:33], v[32:33], v[34:35] op_sel:[0,1] op_sel_hi:[1,0]
	v_mov_b32_e32 v39, v105
	v_pk_add_f32 v[6:7], v[6:7], v[122:123]
	v_mov_b32_e32 v34, v36
	v_mov_b32_e32 v35, v33
	;; [unrolled: 1-line block ×3, first 2 shown]
	ds_write_b64 v101, v[38:39] offset:240
	ds_write2_b64 v31, v[6:7], v[34:35] offset1:15
	v_pk_add_f32 v[6:7], v[112:113], v[102:103]
	v_pk_add_f32 v[28:29], v[112:113], v[102:103] neg_lo:[0,1] neg_hi:[0,1]
	v_mov_b32_e32 v33, v37
	v_pk_fma_f32 v[6:7], v[6:7], 0.5, v[2:3] op_sel_hi:[1,0,1] neg_lo:[1,0,0] neg_hi:[1,0,0]
	v_pk_mul_f32 v[28:29], v[28:29], s[2:3] op_sel_hi:[1,0]
	ds_write_b64 v31, v[32:33] offset:240
	v_pk_add_f32 v[30:31], v[6:7], v[28:29] op_sel:[0,1] op_sel_hi:[1,0]
	v_pk_add_f32 v[6:7], v[6:7], v[28:29] op_sel:[0,1] op_sel_hi:[1,0] neg_lo:[0,1] neg_hi:[0,1]
	v_pk_add_f32 v[2:3], v[2:3], v[112:113]
	v_mov_b32_e32 v28, v6
	v_pk_add_f32 v[2:3], v[2:3], v[102:103]
	v_mov_b32_e32 v29, v31
	v_mov_b32_e32 v15, v13
	ds_write2_b64 v101, v[2:3], v[28:29] offset0:48 offset1:63
	v_pk_add_f32 v[2:3], v[14:15], v[8:9]
	v_pk_add_f32 v[10:11], v[14:15], v[8:9] neg_lo:[0,1] neg_hi:[0,1]
	v_pk_fma_f32 v[2:3], v[2:3], 0.5, v[0:1] op_sel_hi:[1,0,1] neg_lo:[1,0,0] neg_hi:[1,0,0]
	v_pk_mul_f32 v[10:11], v[10:11], s[2:3] op_sel_hi:[1,0]
	v_mov_b32_e32 v17, v19
	v_mov_b32_e32 v25, v21
	v_pk_add_f32 v[12:13], v[2:3], v[10:11] op_sel:[0,1] op_sel_hi:[1,0]
	v_pk_add_f32 v[2:3], v[2:3], v[10:11] op_sel:[0,1] op_sel_hi:[1,0] neg_lo:[0,1] neg_hi:[0,1]
	v_pk_add_f32 v[10:11], v[16:17], v[24:25]
	v_mov_b32_e32 v31, v7
	v_pk_add_f32 v[6:7], v[16:17], v[24:25] neg_lo:[0,1] neg_hi:[0,1]
	v_pk_fma_f32 v[10:11], v[10:11], 0.5, v[4:5] op_sel_hi:[1,0,1] neg_lo:[1,0,0] neg_hi:[1,0,0]
	v_pk_mul_f32 v[6:7], v[6:7], s[2:3] op_sel_hi:[1,0]
	v_pk_add_f32 v[4:5], v[4:5], v[16:17]
	v_pk_add_f32 v[16:17], v[10:11], v[6:7] op_sel:[0,1] op_sel_hi:[1,0] neg_lo:[0,1] neg_hi:[0,1]
	v_pk_add_f32 v[6:7], v[10:11], v[6:7] op_sel:[0,1] op_sel_hi:[1,0]
	v_pk_add_f32 v[4:5], v[4:5], v[24:25]
	v_mov_b32_e32 v10, v16
	v_mov_b32_e32 v11, v7
	v_pk_add_f32 v[0:1], v[0:1], v[14:15]
	ds_write_b64 v101, v[30:31] offset:624
	ds_write2_b64 v27, v[4:5], v[10:11] offset1:15
	v_mov_b32_e32 v7, v17
	v_pk_add_f32 v[0:1], v[0:1], v[8:9]
	v_mov_b32_e32 v4, v2
	v_mov_b32_e32 v5, v13
	;; [unrolled: 1-line block ×3, first 2 shown]
	ds_write_b64 v27, v[6:7] offset:240
	ds_write2_b64 v23, v[0:1], v[4:5] offset0:90 offset1:105
	ds_write_b64 v23, v[12:13] offset:960
	s_waitcnt lgkmcnt(0)
	s_barrier
	ds_read2_b64 v[0:3], v101 offset0:36 offset1:45
	ds_read2_b64 v[4:7], v101 offset1:9
	ds_read2_b64 v[8:11], v101 offset0:90 offset1:99
	s_waitcnt lgkmcnt(2)
	v_pk_mul_f32 v[12:13], v[40:41], v[2:3] op_sel:[1,0]
	s_nop 0
	v_pk_fma_f32 v[20:21], v[40:41], v[2:3], v[12:13] op_sel:[0,0,1] op_sel_hi:[1,1,0]
	v_pk_fma_f32 v[2:3], v[40:41], v[2:3], v[12:13] op_sel:[0,0,1] op_sel_hi:[0,1,0] neg_lo:[0,0,1] neg_hi:[0,0,1]
	ds_read2_b64 v[12:15], v101 offset0:54 offset1:63
	v_mov_b32_e32 v21, v3
	s_waitcnt lgkmcnt(1)
	v_pk_mul_f32 v[2:3], v[120:121], v[8:9] op_sel_hi:[0,1]
	v_pk_fma_f32 v[22:23], v[42:43], v[8:9], v[2:3] op_sel:[0,0,1] op_sel_hi:[1,1,0]
	v_pk_fma_f32 v[2:3], v[42:43], v[8:9], v[2:3] op_sel:[0,0,1] op_sel_hi:[0,1,0] neg_lo:[0,0,1] neg_hi:[0,0,1]
	s_waitcnt lgkmcnt(0)
	v_pk_mul_f32 v[8:9], v[44:45], v[12:13] op_sel:[1,0]
	v_mov_b32_e32 v23, v3
	v_pk_fma_f32 v[24:25], v[44:45], v[12:13], v[8:9] op_sel:[0,0,1] op_sel_hi:[1,1,0]
	v_pk_fma_f32 v[8:9], v[44:45], v[12:13], v[8:9] op_sel:[0,0,1] op_sel_hi:[0,1,0] neg_lo:[0,0,1] neg_hi:[0,0,1]
	v_mov_b32_e32 v25, v9
	v_pk_mul_f32 v[8:9], v[118:119], v[10:11] op_sel_hi:[0,1]
	v_pk_fma_f32 v[26:27], v[46:47], v[10:11], v[8:9] op_sel:[0,0,1] op_sel_hi:[1,1,0]
	v_pk_fma_f32 v[8:9], v[46:47], v[10:11], v[8:9] op_sel:[0,0,1] op_sel_hi:[0,1,0] neg_lo:[0,0,1] neg_hi:[0,0,1]
	v_mov_b32_e32 v27, v9
	v_pk_add_f32 v[8:9], v[6:7], v[24:25]
	v_pk_mul_f32 v[12:13], v[48:49], v[14:15] op_sel:[1,0]
	v_pk_add_f32 v[28:29], v[8:9], v[26:27]
	ds_read2_b64 v[8:11], v101 offset0:108 offset1:117
	v_pk_fma_f32 v[30:31], v[48:49], v[14:15], v[12:13] op_sel:[0,0,1] op_sel_hi:[1,1,0]
	v_pk_fma_f32 v[16:17], v[48:49], v[14:15], v[12:13] op_sel:[0,0,1] op_sel_hi:[0,1,0] neg_lo:[0,0,1] neg_hi:[0,0,1]
	v_mov_b32_e32 v31, v17
	v_pk_add_f32 v[2:3], v[4:5], v[20:21]
	s_waitcnt lgkmcnt(0)
	v_pk_mul_f32 v[16:17], v[114:115], v[8:9] op_sel_hi:[0,1]
	v_pk_fma_f32 v[32:33], v[50:51], v[8:9], v[16:17] op_sel:[0,0,1] op_sel_hi:[1,1,0]
	v_pk_fma_f32 v[8:9], v[50:51], v[8:9], v[16:17] op_sel:[0,0,1] op_sel_hi:[0,1,0] neg_lo:[0,0,1] neg_hi:[0,0,1]
	ds_read2_b64 v[16:19], v101 offset0:72 offset1:81
	v_pk_mul_f32 v[34:35], v[116:117], v[10:11] op_sel_hi:[0,1]
	v_pk_fma_f32 v[36:37], v[54:55], v[10:11], v[34:35] op_sel:[0,0,1] op_sel_hi:[1,1,0]
	v_pk_fma_f32 v[10:11], v[54:55], v[10:11], v[34:35] op_sel:[0,0,1] op_sel_hi:[0,1,0] neg_lo:[0,0,1] neg_hi:[0,0,1]
	v_pk_add_f32 v[2:3], v[2:3], v[22:23]
	s_waitcnt lgkmcnt(0)
	v_pk_mul_f32 v[34:35], v[52:53], v[16:17] op_sel:[1,0]
	ds_read2_b64 v[12:15], v101 offset0:18 offset1:27
	v_pk_fma_f32 v[38:39], v[52:53], v[16:17], v[34:35] op_sel:[0,0,1] op_sel_hi:[1,1,0]
	v_pk_fma_f32 v[16:17], v[52:53], v[16:17], v[34:35] op_sel:[0,0,1] op_sel_hi:[0,1,0] neg_lo:[0,0,1] neg_hi:[0,0,1]
	v_mov_b32_e32 v39, v17
	ds_read_b64 v[16:17], v101 offset:1008
	v_pk_mul_f32 v[34:35], v[56:57], v[18:19] op_sel:[1,0]
	v_mov_b32_e32 v33, v9
	v_pk_fma_f32 v[40:41], v[56:57], v[18:19], v[34:35] op_sel:[0,0,1] op_sel_hi:[1,1,0]
	v_pk_fma_f32 v[18:19], v[56:57], v[18:19], v[34:35] op_sel:[0,0,1] op_sel_hi:[0,1,0] neg_lo:[0,0,1] neg_hi:[0,0,1]
	v_mov_b32_e32 v41, v19
	s_waitcnt lgkmcnt(0)
	v_pk_mul_f32 v[18:19], v[124:125], v[16:17] op_sel_hi:[0,1]
	v_pk_fma_f32 v[34:35], v[58:59], v[16:17], v[18:19] op_sel:[0,0,1] op_sel_hi:[1,1,0]
	v_pk_fma_f32 v[16:17], v[58:59], v[16:17], v[18:19] op_sel:[0,0,1] op_sel_hi:[0,1,0] neg_lo:[0,0,1] neg_hi:[0,0,1]
	v_pk_add_f32 v[18:19], v[20:21], v[22:23]
	v_pk_add_f32 v[8:9], v[12:13], v[30:31]
	v_pk_fma_f32 v[4:5], v[18:19], 0.5, v[4:5] op_sel_hi:[1,0,1] neg_lo:[1,0,0] neg_hi:[1,0,0]
	v_pk_add_f32 v[18:19], v[20:21], v[22:23] neg_lo:[0,1] neg_hi:[0,1]
	v_mov_b32_e32 v37, v11
	v_pk_mul_f32 v[18:19], v[18:19], s[2:3] op_sel_hi:[1,0]
	v_pk_add_f32 v[10:11], v[14:15], v[38:39]
	v_pk_add_f32 v[20:21], v[4:5], v[18:19] op_sel:[0,1] op_sel_hi:[1,0] neg_lo:[0,1] neg_hi:[0,1]
	v_pk_add_f32 v[4:5], v[4:5], v[18:19] op_sel:[0,1] op_sel_hi:[1,0]
	v_mov_b32_e32 v18, v20
	v_mov_b32_e32 v19, v5
	;; [unrolled: 1-line block ×3, first 2 shown]
	ds_write_b64 v101, v[18:19] offset:360
	ds_write_b64 v101, v[4:5] offset:720
	ds_write2_b64 v101, v[2:3], v[28:29] offset1:9
	v_pk_add_f32 v[2:3], v[24:25], v[26:27]
	v_pk_add_f32 v[4:5], v[24:25], v[26:27] neg_lo:[0,1] neg_hi:[0,1]
	v_pk_fma_f32 v[2:3], v[2:3], 0.5, v[6:7] op_sel_hi:[1,0,1] neg_lo:[1,0,0] neg_hi:[1,0,0]
	v_pk_mul_f32 v[4:5], v[4:5], s[2:3] op_sel_hi:[1,0]
	v_pk_add_f32 v[8:9], v[8:9], v[32:33]
	v_pk_add_f32 v[6:7], v[2:3], v[4:5] op_sel:[0,1] op_sel_hi:[1,0] neg_lo:[0,1] neg_hi:[0,1]
	v_pk_add_f32 v[2:3], v[2:3], v[4:5] op_sel:[0,1] op_sel_hi:[1,0]
	v_mov_b32_e32 v4, v6
	v_mov_b32_e32 v5, v3
	;; [unrolled: 1-line block ×3, first 2 shown]
	ds_write_b64 v101, v[2:3] offset:792
	v_pk_add_f32 v[2:3], v[30:31], v[32:33]
	v_pk_add_f32 v[6:7], v[30:31], v[32:33] neg_lo:[0,1] neg_hi:[0,1]
	v_pk_fma_f32 v[2:3], v[2:3], 0.5, v[12:13] op_sel_hi:[1,0,1] neg_lo:[1,0,0] neg_hi:[1,0,0]
	v_pk_mul_f32 v[6:7], v[6:7], s[2:3] op_sel_hi:[1,0]
	v_pk_add_f32 v[10:11], v[10:11], v[36:37]
	v_pk_add_f32 v[12:13], v[2:3], v[6:7] op_sel:[0,1] op_sel_hi:[1,0] neg_lo:[0,1] neg_hi:[0,1]
	v_pk_add_f32 v[2:3], v[2:3], v[6:7] op_sel:[0,1] op_sel_hi:[1,0]
	v_mov_b32_e32 v6, v12
	v_mov_b32_e32 v7, v3
	ds_write2_b64 v101, v[4:5], v[6:7] offset0:54 offset1:63
	v_pk_add_f32 v[4:5], v[38:39], v[36:37]
	v_pk_add_f32 v[6:7], v[38:39], v[36:37] neg_lo:[0,1] neg_hi:[0,1]
	v_pk_fma_f32 v[4:5], v[4:5], 0.5, v[14:15] op_sel_hi:[1,0,1] neg_lo:[1,0,0] neg_hi:[1,0,0]
	v_pk_mul_f32 v[6:7], v[6:7], s[2:3] op_sel_hi:[1,0]
	ds_write2_b64 v101, v[8:9], v[10:11] offset0:18 offset1:27
	v_pk_add_f32 v[8:9], v[4:5], v[6:7] op_sel:[0,1] op_sel_hi:[1,0] neg_lo:[0,1] neg_hi:[0,1]
	v_pk_add_f32 v[4:5], v[4:5], v[6:7] op_sel:[0,1] op_sel_hi:[1,0]
	v_mov_b32_e32 v35, v17
	v_pk_add_f32 v[16:17], v[0:1], v[40:41]
	v_mov_b32_e32 v3, v13
	v_mov_b32_e32 v7, v5
	;; [unrolled: 1-line block ×3, first 2 shown]
	v_pk_add_f32 v[16:17], v[16:17], v[34:35]
	ds_write2_b64 v101, v[2:3], v[4:5] offset0:108 offset1:117
	ds_write_b64 v101, v[16:17] offset:288
	v_pk_add_f32 v[2:3], v[40:41], v[34:35]
	v_mov_b32_e32 v6, v8
	v_pk_fma_f32 v[0:1], v[2:3], 0.5, v[0:1] op_sel_hi:[1,0,1] neg_lo:[1,0,0] neg_hi:[1,0,0]
	v_pk_add_f32 v[2:3], v[40:41], v[34:35] neg_lo:[0,1] neg_hi:[0,1]
	v_mov_b32_e32 v8, s0
	v_pk_mul_f32 v[2:3], v[2:3], s[2:3] op_sel_hi:[1,0]
	v_mov_b32_e32 v9, s1
	v_pk_add_f32 v[4:5], v[0:1], v[2:3] op_sel:[0,1] op_sel_hi:[1,0] neg_lo:[0,1] neg_hi:[0,1]
	v_pk_add_f32 v[0:1], v[0:1], v[2:3] op_sel:[0,1] op_sel_hi:[1,0]
	v_mov_b32_e32 v2, v4
	v_mov_b32_e32 v3, v1
	;; [unrolled: 1-line block ×3, first 2 shown]
	ds_write2_b64 v101, v[6:7], v[2:3] offset0:72 offset1:81
	ds_write_b64 v101, v[0:1] offset:1008
	s_waitcnt lgkmcnt(0)
	s_barrier
	ds_read2_b64 v[0:3], v101 offset1:9
	s_mov_b32 s0, 0xc901e574
	s_mov_b32 s1, 0x3f7e573a
	v_lshl_add_u64 v[8:9], v[92:93], 3, v[8:9]
	s_waitcnt lgkmcnt(0)
	v_mul_f32_e32 v4, v91, v1
	v_fmac_f32_e32 v4, v90, v0
	v_mul_f32_e32 v0, v91, v0
	v_fma_f32 v0, v90, v1, -v0
	v_cvt_f64_f32_e32 v[0:1], v0
	v_cvt_f64_f32_e32 v[4:5], v4
	v_mul_f64 v[0:1], v[0:1], s[0:1]
	v_mul_f64 v[4:5], v[4:5], s[0:1]
	v_cvt_f32_f64_e32 v11, v[0:1]
	v_mad_u64_u32 v[0:1], s[2:3], s4, v84, 0
	v_cvt_f32_f64_e32 v10, v[4:5]
	v_mov_b32_e32 v4, v1
	v_mad_u64_u32 v[12:13], s[2:3], s5, v84, v[4:5]
	ds_read2_b64 v[4:7], v101 offset0:18 offset1:27
	v_mov_b32_e32 v1, v12
	v_lshl_add_u64 v[0:1], v[0:1], 3, v[8:9]
	global_store_dwordx2 v[0:1], v[10:11], off
	v_mad_u64_u32 v[0:1], s[2:3], s4, v97, v[0:1]
	s_waitcnt lgkmcnt(0)
	v_mul_f32_e32 v8, v89, v7
	v_fmac_f32_e32 v8, v88, v6
	v_mul_f32_e32 v6, v89, v6
	v_fma_f32 v6, v88, v7, -v6
	v_cvt_f64_f32_e32 v[8:9], v8
	v_cvt_f64_f32_e32 v[6:7], v6
	v_mul_f64 v[8:9], v[8:9], s[0:1]
	v_mul_f64 v[6:7], v[6:7], s[0:1]
	v_cvt_f32_f64_e32 v10, v[8:9]
	v_cvt_f32_f64_e32 v11, v[6:7]
	ds_read2_b64 v[6:9], v101 offset0:54 offset1:63
	s_mul_i32 s2, s5, 0xd8
	v_add_u32_e32 v1, s2, v1
	global_store_dwordx2 v[0:1], v[10:11], off
	v_mad_u64_u32 v[0:1], s[6:7], s4, v97, v[0:1]
	s_waitcnt lgkmcnt(0)
	v_mul_f32_e32 v10, v87, v7
	v_fmac_f32_e32 v10, v86, v6
	v_cvt_f64_f32_e32 v[10:11], v10
	v_mul_f64 v[10:11], v[10:11], s[0:1]
	v_cvt_f32_f64_e32 v14, v[10:11]
	ds_read2_b64 v[10:13], v101 offset0:72 offset1:81
	v_mul_f32_e32 v6, v87, v6
	v_fma_f32 v6, v86, v7, -v6
	v_cvt_f64_f32_e32 v[6:7], v6
	v_mul_f64 v[6:7], v[6:7], s[0:1]
	v_cvt_f32_f64_e32 v15, v[6:7]
	s_waitcnt lgkmcnt(0)
	v_mul_f32_e32 v6, v83, v13
	v_fmac_f32_e32 v6, v82, v12
	v_cvt_f64_f32_e32 v[6:7], v6
	v_mul_f64 v[6:7], v[6:7], s[0:1]
	v_cvt_f32_f64_e32 v6, v[6:7]
	v_mul_f32_e32 v7, v83, v12
	v_fma_f32 v7, v82, v13, -v7
	v_cvt_f64_f32_e32 v[12:13], v7
	v_add_u32_e32 v1, s2, v1
	v_mul_f64 v[12:13], v[12:13], s[0:1]
	global_store_dwordx2 v[0:1], v[14:15], off
	v_cvt_f32_f64_e32 v7, v[12:13]
	ds_read2_b64 v[12:15], v101 offset0:108 offset1:117
	v_mad_u64_u32 v[0:1], s[6:7], s4, v97, v[0:1]
	v_add_u32_e32 v1, s2, v1
	global_store_dwordx2 v[0:1], v[6:7], off
	s_waitcnt lgkmcnt(0)
	v_mul_f32_e32 v6, v79, v13
	v_fmac_f32_e32 v6, v78, v12
	v_cvt_f64_f32_e32 v[6:7], v6
	v_mul_f64 v[6:7], v[6:7], s[0:1]
	v_cvt_f32_f64_e32 v6, v[6:7]
	v_mul_f32_e32 v7, v79, v12
	v_fma_f32 v7, v78, v13, -v7
	v_cvt_f64_f32_e32 v[12:13], v7
	v_mul_f64 v[12:13], v[12:13], s[0:1]
	v_mad_u64_u32 v[0:1], s[6:7], s4, v97, v[0:1]
	v_cvt_f32_f64_e32 v7, v[12:13]
	v_add_u32_e32 v1, s2, v1
	global_store_dwordx2 v[0:1], v[6:7], off
	v_mul_f32_e32 v6, v81, v3
	v_fmac_f32_e32 v6, v80, v2
	v_mul_f32_e32 v2, v81, v2
	v_fma_f32 v2, v80, v3, -v2
	v_cvt_f64_f32_e32 v[6:7], v6
	v_cvt_f64_f32_e32 v[2:3], v2
	v_mul_f64 v[6:7], v[6:7], s[0:1]
	v_mul_f64 v[2:3], v[2:3], s[0:1]
	v_cvt_f32_f64_e32 v6, v[6:7]
	v_cvt_f32_f64_e32 v7, v[2:3]
	v_mad_u64_u32 v[12:13], s[6:7], s4, v99, v[0:1]
	ds_read2_b64 v[0:3], v101 offset0:36 offset1:45
	s_mul_i32 s3, s5, 0xfffffce8
	s_sub_i32 s3, s3, s4
	v_add_u32_e32 v13, s3, v13
	global_store_dwordx2 v[12:13], v[6:7], off
	s_waitcnt lgkmcnt(0)
	v_mul_f32_e32 v6, v77, v1
	v_fmac_f32_e32 v6, v76, v0
	v_mul_f32_e32 v0, v77, v0
	v_fma_f32 v0, v76, v1, -v0
	v_cvt_f64_f32_e32 v[6:7], v6
	v_cvt_f64_f32_e32 v[0:1], v0
	v_mul_f64 v[6:7], v[6:7], s[0:1]
	v_mul_f64 v[0:1], v[0:1], s[0:1]
	v_cvt_f32_f64_e32 v6, v[6:7]
	v_cvt_f32_f64_e32 v7, v[0:1]
	v_mad_u64_u32 v[0:1], s[6:7], s4, v97, v[12:13]
	v_add_u32_e32 v1, s2, v1
	global_store_dwordx2 v[0:1], v[6:7], off
	v_mul_f32_e32 v6, v75, v9
	v_fmac_f32_e32 v6, v74, v8
	v_cvt_f64_f32_e32 v[6:7], v6
	v_mul_f64 v[6:7], v[6:7], s[0:1]
	v_cvt_f32_f64_e32 v12, v[6:7]
	v_mul_f32_e32 v6, v75, v8
	v_fma_f32 v6, v74, v9, -v6
	v_cvt_f64_f32_e32 v[6:7], v6
	v_mul_f64 v[6:7], v[6:7], s[0:1]
	v_cvt_f32_f64_e32 v13, v[6:7]
	ds_read2_b64 v[6:9], v101 offset0:90 offset1:99
	v_mad_u64_u32 v[0:1], s[6:7], s4, v97, v[0:1]
	v_add_u32_e32 v1, s2, v1
	global_store_dwordx2 v[0:1], v[12:13], off
	s_waitcnt lgkmcnt(0)
	v_mul_f32_e32 v12, v71, v7
	v_fmac_f32_e32 v12, v70, v6
	v_mul_f32_e32 v6, v71, v6
	v_fma_f32 v6, v70, v7, -v6
	v_cvt_f64_f32_e32 v[12:13], v12
	v_cvt_f64_f32_e32 v[6:7], v6
	v_mul_f64 v[12:13], v[12:13], s[0:1]
	v_mul_f64 v[6:7], v[6:7], s[0:1]
	v_cvt_f32_f64_e32 v12, v[12:13]
	v_cvt_f32_f64_e32 v13, v[6:7]
	v_mul_f32_e32 v6, v69, v15
	v_fmac_f32_e32 v6, v68, v14
	v_cvt_f64_f32_e32 v[6:7], v6
	v_mul_f64 v[6:7], v[6:7], s[0:1]
	v_mad_u64_u32 v[0:1], s[6:7], s4, v97, v[0:1]
	v_cvt_f32_f64_e32 v6, v[6:7]
	v_mul_f32_e32 v7, v69, v14
	v_add_u32_e32 v1, s2, v1
	v_fma_f32 v7, v68, v15, -v7
	global_store_dwordx2 v[0:1], v[12:13], off
	v_cvt_f64_f32_e32 v[12:13], v7
	v_mul_f64 v[12:13], v[12:13], s[0:1]
	v_mad_u64_u32 v[0:1], s[6:7], s4, v97, v[0:1]
	v_cvt_f32_f64_e32 v7, v[12:13]
	v_add_u32_e32 v1, s2, v1
	global_store_dwordx2 v[0:1], v[6:7], off
	v_mul_f32_e32 v6, v67, v5
	v_fmac_f32_e32 v6, v66, v4
	v_mul_f32_e32 v4, v67, v4
	v_fma_f32 v4, v66, v5, -v4
	v_cvt_f64_f32_e32 v[6:7], v6
	v_cvt_f64_f32_e32 v[4:5], v4
	v_mul_f64 v[6:7], v[6:7], s[0:1]
	v_mul_f64 v[4:5], v[4:5], s[0:1]
	v_cvt_f32_f64_e32 v6, v[6:7]
	v_cvt_f32_f64_e32 v7, v[4:5]
	v_mul_f32_e32 v4, v65, v3
	v_fmac_f32_e32 v4, v64, v2
	v_mul_f32_e32 v2, v65, v2
	v_fma_f32 v2, v64, v3, -v2
	v_cvt_f64_f32_e32 v[4:5], v4
	v_cvt_f64_f32_e32 v[2:3], v2
	v_mul_f64 v[4:5], v[4:5], s[0:1]
	v_mul_f64 v[2:3], v[2:3], s[0:1]
	v_cvt_f32_f64_e32 v4, v[4:5]
	v_cvt_f32_f64_e32 v5, v[2:3]
	v_mul_f32_e32 v2, v73, v11
	v_fmac_f32_e32 v2, v72, v10
	v_mad_u64_u32 v[0:1], s[6:7], s4, v99, v[0:1]
	v_cvt_f64_f32_e32 v[2:3], v2
	v_add_u32_e32 v1, s3, v1
	v_mul_f64 v[2:3], v[2:3], s[0:1]
	global_store_dwordx2 v[0:1], v[6:7], off
	v_mad_u64_u32 v[0:1], s[6:7], s4, v97, v[0:1]
	v_cvt_f32_f64_e32 v2, v[2:3]
	v_mul_f32_e32 v3, v73, v10
	v_add_u32_e32 v1, s2, v1
	v_fma_f32 v3, v72, v11, -v3
	global_store_dwordx2 v[0:1], v[4:5], off
	v_cvt_f64_f32_e32 v[4:5], v3
	v_mul_f64 v[4:5], v[4:5], s[0:1]
	v_mad_u64_u32 v[0:1], s[6:7], s4, v97, v[0:1]
	v_cvt_f32_f64_e32 v3, v[4:5]
	v_add_u32_e32 v1, s2, v1
	global_store_dwordx2 v[0:1], v[2:3], off
	v_mul_f32_e32 v2, v63, v9
	v_fmac_f32_e32 v2, v62, v8
	v_cvt_f64_f32_e32 v[2:3], v2
	v_mul_f64 v[2:3], v[2:3], s[0:1]
	v_cvt_f32_f64_e32 v2, v[2:3]
	v_mul_f32_e32 v3, v63, v8
	v_fma_f32 v3, v62, v9, -v3
	v_cvt_f64_f32_e32 v[4:5], v3
	v_mul_f64 v[4:5], v[4:5], s[0:1]
	v_cvt_f32_f64_e32 v3, v[4:5]
	ds_read_b64 v[4:5], v101 offset:1008
	v_mad_u64_u32 v[0:1], s[6:7], s4, v97, v[0:1]
	v_add_u32_e32 v1, s2, v1
	global_store_dwordx2 v[0:1], v[2:3], off
	s_waitcnt lgkmcnt(0)
	v_mul_f32_e32 v2, v61, v5
	v_fmac_f32_e32 v2, v60, v4
	v_cvt_f64_f32_e32 v[2:3], v2
	v_mul_f64 v[2:3], v[2:3], s[0:1]
	v_cvt_f32_f64_e32 v2, v[2:3]
	v_mul_f32_e32 v3, v61, v4
	v_fma_f32 v3, v60, v5, -v3
	v_cvt_f64_f32_e32 v[4:5], v3
	v_mul_f64 v[4:5], v[4:5], s[0:1]
	v_mad_u64_u32 v[0:1], s[0:1], s4, v97, v[0:1]
	v_cvt_f32_f64_e32 v3, v[4:5]
	v_add_u32_e32 v1, s2, v1
	global_store_dwordx2 v[0:1], v[2:3], off
.LBB0_2:
	s_endpgm
	.section	.rodata,"a",@progbits
	.p2align	6, 0x0
	.amdhsa_kernel bluestein_single_back_len135_dim1_sp_op_CI_CI
		.amdhsa_group_segment_fixed_size 15120
		.amdhsa_private_segment_fixed_size 0
		.amdhsa_kernarg_size 104
		.amdhsa_user_sgpr_count 2
		.amdhsa_user_sgpr_dispatch_ptr 0
		.amdhsa_user_sgpr_queue_ptr 0
		.amdhsa_user_sgpr_kernarg_segment_ptr 1
		.amdhsa_user_sgpr_dispatch_id 0
		.amdhsa_user_sgpr_kernarg_preload_length 0
		.amdhsa_user_sgpr_kernarg_preload_offset 0
		.amdhsa_user_sgpr_private_segment_size 0
		.amdhsa_uses_dynamic_stack 0
		.amdhsa_enable_private_segment 0
		.amdhsa_system_sgpr_workgroup_id_x 1
		.amdhsa_system_sgpr_workgroup_id_y 0
		.amdhsa_system_sgpr_workgroup_id_z 0
		.amdhsa_system_sgpr_workgroup_info 0
		.amdhsa_system_vgpr_workitem_id 0
		.amdhsa_next_free_vgpr 170
		.amdhsa_next_free_sgpr 22
		.amdhsa_accum_offset 172
		.amdhsa_reserve_vcc 1
		.amdhsa_float_round_mode_32 0
		.amdhsa_float_round_mode_16_64 0
		.amdhsa_float_denorm_mode_32 3
		.amdhsa_float_denorm_mode_16_64 3
		.amdhsa_dx10_clamp 1
		.amdhsa_ieee_mode 1
		.amdhsa_fp16_overflow 0
		.amdhsa_tg_split 0
		.amdhsa_exception_fp_ieee_invalid_op 0
		.amdhsa_exception_fp_denorm_src 0
		.amdhsa_exception_fp_ieee_div_zero 0
		.amdhsa_exception_fp_ieee_overflow 0
		.amdhsa_exception_fp_ieee_underflow 0
		.amdhsa_exception_fp_ieee_inexact 0
		.amdhsa_exception_int_div_zero 0
	.end_amdhsa_kernel
	.text
.Lfunc_end0:
	.size	bluestein_single_back_len135_dim1_sp_op_CI_CI, .Lfunc_end0-bluestein_single_back_len135_dim1_sp_op_CI_CI
                                        ; -- End function
	.section	.AMDGPU.csdata,"",@progbits
; Kernel info:
; codeLenInByte = 10956
; NumSgprs: 28
; NumVgprs: 170
; NumAgprs: 0
; TotalNumVgprs: 170
; ScratchSize: 0
; MemoryBound: 0
; FloatMode: 240
; IeeeMode: 1
; LDSByteSize: 15120 bytes/workgroup (compile time only)
; SGPRBlocks: 3
; VGPRBlocks: 21
; NumSGPRsForWavesPerEU: 28
; NumVGPRsForWavesPerEU: 170
; AccumOffset: 172
; Occupancy: 2
; WaveLimiterHint : 1
; COMPUTE_PGM_RSRC2:SCRATCH_EN: 0
; COMPUTE_PGM_RSRC2:USER_SGPR: 2
; COMPUTE_PGM_RSRC2:TRAP_HANDLER: 0
; COMPUTE_PGM_RSRC2:TGID_X_EN: 1
; COMPUTE_PGM_RSRC2:TGID_Y_EN: 0
; COMPUTE_PGM_RSRC2:TGID_Z_EN: 0
; COMPUTE_PGM_RSRC2:TIDIG_COMP_CNT: 0
; COMPUTE_PGM_RSRC3_GFX90A:ACCUM_OFFSET: 42
; COMPUTE_PGM_RSRC3_GFX90A:TG_SPLIT: 0
	.text
	.p2alignl 6, 3212836864
	.fill 256, 4, 3212836864
	.type	__hip_cuid_e829365f5e070d18,@object ; @__hip_cuid_e829365f5e070d18
	.section	.bss,"aw",@nobits
	.globl	__hip_cuid_e829365f5e070d18
__hip_cuid_e829365f5e070d18:
	.byte	0                               ; 0x0
	.size	__hip_cuid_e829365f5e070d18, 1

	.ident	"AMD clang version 19.0.0git (https://github.com/RadeonOpenCompute/llvm-project roc-6.4.0 25133 c7fe45cf4b819c5991fe208aaa96edf142730f1d)"
	.section	".note.GNU-stack","",@progbits
	.addrsig
	.addrsig_sym __hip_cuid_e829365f5e070d18
	.amdgpu_metadata
---
amdhsa.kernels:
  - .agpr_count:     0
    .args:
      - .actual_access:  read_only
        .address_space:  global
        .offset:         0
        .size:           8
        .value_kind:     global_buffer
      - .actual_access:  read_only
        .address_space:  global
        .offset:         8
        .size:           8
        .value_kind:     global_buffer
      - .actual_access:  read_only
        .address_space:  global
        .offset:         16
        .size:           8
        .value_kind:     global_buffer
      - .actual_access:  read_only
        .address_space:  global
        .offset:         24
        .size:           8
        .value_kind:     global_buffer
      - .actual_access:  read_only
        .address_space:  global
        .offset:         32
        .size:           8
        .value_kind:     global_buffer
      - .offset:         40
        .size:           8
        .value_kind:     by_value
      - .address_space:  global
        .offset:         48
        .size:           8
        .value_kind:     global_buffer
      - .address_space:  global
        .offset:         56
        .size:           8
        .value_kind:     global_buffer
      - .address_space:  global
        .offset:         64
        .size:           8
        .value_kind:     global_buffer
      - .address_space:  global
        .offset:         72
        .size:           8
        .value_kind:     global_buffer
      - .offset:         80
        .size:           4
        .value_kind:     by_value
      - .address_space:  global
        .offset:         88
        .size:           8
        .value_kind:     global_buffer
      - .address_space:  global
        .offset:         96
        .size:           8
        .value_kind:     global_buffer
    .group_segment_fixed_size: 15120
    .kernarg_segment_align: 8
    .kernarg_segment_size: 104
    .language:       OpenCL C
    .language_version:
      - 2
      - 0
    .max_flat_workgroup_size: 126
    .name:           bluestein_single_back_len135_dim1_sp_op_CI_CI
    .private_segment_fixed_size: 0
    .sgpr_count:     28
    .sgpr_spill_count: 0
    .symbol:         bluestein_single_back_len135_dim1_sp_op_CI_CI.kd
    .uniform_work_group_size: 1
    .uses_dynamic_stack: false
    .vgpr_count:     170
    .vgpr_spill_count: 0
    .wavefront_size: 64
amdhsa.target:   amdgcn-amd-amdhsa--gfx950
amdhsa.version:
  - 1
  - 2
...

	.end_amdgpu_metadata
